;; amdgpu-corpus repo=ROCm/rocFFT kind=compiled arch=gfx1030 opt=O3
	.text
	.amdgcn_target "amdgcn-amd-amdhsa--gfx1030"
	.amdhsa_code_object_version 6
	.protected	bluestein_single_fwd_len289_dim1_sp_op_CI_CI ; -- Begin function bluestein_single_fwd_len289_dim1_sp_op_CI_CI
	.globl	bluestein_single_fwd_len289_dim1_sp_op_CI_CI
	.p2align	8
	.type	bluestein_single_fwd_len289_dim1_sp_op_CI_CI,@function
bluestein_single_fwd_len289_dim1_sp_op_CI_CI: ; @bluestein_single_fwd_len289_dim1_sp_op_CI_CI
; %bb.0:
	s_load_dwordx4 s[12:15], s[4:5], 0x28
	v_mul_u32_u24_e32 v1, 0xf10, v0
	s_mov_b32 s0, exec_lo
	v_lshrrev_b32_e32 v1, 16, v1
	v_mad_u64_u32 v[60:61], null, s6, 7, v[1:2]
	v_mov_b32_e32 v61, 0
	s_waitcnt lgkmcnt(0)
	v_cmpx_gt_u64_e64 s[12:13], v[60:61]
	s_cbranch_execz .LBB0_2
; %bb.1:
	s_clause 0x1
	s_load_dwordx4 s[0:3], s[4:5], 0x18
	s_load_dwordx4 s[8:11], s[4:5], 0x0
	v_mul_lo_u16 v1, v1, 17
	v_sub_nc_u16 v18, v0, v1
	v_and_b32_e32 v84, 0xffff, v18
	v_mul_lo_u16 v18, v18, 17
	v_lshlrev_b32_e32 v31, 3, v84
	s_waitcnt lgkmcnt(0)
	s_load_dwordx4 s[16:19], s[0:1], 0x0
	s_clause 0xe
	global_load_dwordx2 v[81:82], v31, s[8:9]
	global_load_dwordx2 v[79:80], v31, s[8:9] offset:136
	global_load_dwordx2 v[75:76], v31, s[8:9] offset:272
	global_load_dwordx2 v[73:74], v31, s[8:9] offset:408
	global_load_dwordx2 v[77:78], v31, s[8:9] offset:544
	global_load_dwordx2 v[71:72], v31, s[8:9] offset:680
	global_load_dwordx2 v[69:70], v31, s[8:9] offset:816
	global_load_dwordx2 v[65:66], v31, s[8:9] offset:952
	global_load_dwordx2 v[67:68], v31, s[8:9] offset:1088
	global_load_dwordx2 v[63:64], v31, s[8:9] offset:1224
	global_load_dwordx2 v[61:62], v31, s[8:9] offset:1360
	global_load_dwordx2 v[54:55], v31, s[8:9] offset:1496
	global_load_dwordx2 v[52:53], v31, s[8:9] offset:1632
	global_load_dwordx2 v[50:51], v31, s[8:9] offset:1768
	global_load_dwordx2 v[48:49], v31, s[8:9] offset:1904
	s_waitcnt lgkmcnt(0)
	v_mad_u64_u32 v[0:1], null, s18, v60, 0
	v_mad_u64_u32 v[2:3], null, s16, v84, 0
	s_mul_i32 s0, s17, 0x88
	s_mul_hi_u32 s1, s16, 0x88
	s_mul_i32 s6, s16, 0x88
	s_add_i32 s1, s1, s0
	v_add_co_u32 v36, s0, s8, v31
	v_mad_u64_u32 v[4:5], null, s19, v60, v[1:2]
	v_add_co_ci_u32_e64 v37, null, s9, 0, s0
	v_mad_u64_u32 v[5:6], null, s17, v84, v[3:4]
	v_mov_b32_e32 v1, v4
	v_lshlrev_b64 v[0:1], 3, v[0:1]
	v_mov_b32_e32 v3, v5
	v_add_co_u32 v0, vcc_lo, s14, v0
	v_lshlrev_b64 v[2:3], 3, v[2:3]
	v_add_co_ci_u32_e32 v1, vcc_lo, s15, v1, vcc_lo
	v_add_co_u32 v0, vcc_lo, v0, v2
	v_add_co_ci_u32_e32 v1, vcc_lo, v1, v3, vcc_lo
	v_add_co_u32 v2, vcc_lo, v0, s6
	v_add_co_ci_u32_e32 v3, vcc_lo, s1, v1, vcc_lo
	global_load_dwordx2 v[0:1], v[0:1], off
	v_add_co_u32 v4, vcc_lo, v2, s6
	v_add_co_ci_u32_e32 v5, vcc_lo, s1, v3, vcc_lo
	global_load_dwordx2 v[2:3], v[2:3], off
	v_add_co_u32 v32, vcc_lo, 0x800, v36
	v_add_co_ci_u32_e32 v33, vcc_lo, 0, v37, vcc_lo
	v_add_co_u32 v6, vcc_lo, v4, s6
	v_add_co_ci_u32_e32 v7, vcc_lo, s1, v5, vcc_lo
	;; [unrolled: 2-line block ×4, first 2 shown]
	s_clause 0x2
	global_load_dwordx2 v[4:5], v[4:5], off
	global_load_dwordx2 v[6:7], v[6:7], off
	;; [unrolled: 1-line block ×3, first 2 shown]
	v_add_co_u32 v12, vcc_lo, v10, s6
	v_add_co_ci_u32_e32 v13, vcc_lo, s1, v11, vcc_lo
	global_load_dwordx2 v[10:11], v[10:11], off
	v_add_co_u32 v14, vcc_lo, v12, s6
	v_add_co_ci_u32_e32 v15, vcc_lo, s1, v13, vcc_lo
	global_load_dwordx2 v[12:13], v[12:13], off
	;; [unrolled: 3-line block ×10, first 2 shown]
	v_add_co_u32 v38, vcc_lo, v19, s6
	v_add_co_ci_u32_e32 v39, vcc_lo, s1, v20, vcc_lo
	global_load_dwordx2 v[56:57], v31, s[8:9] offset:2040
	global_load_dwordx2 v[40:41], v[19:20], off
	global_load_dwordx2 v[58:59], v[32:33], off offset:128
	global_load_dwordx2 v[38:39], v[38:39], off
	v_mul_hi_u32 v19, 0x24924925, v60
	s_load_dwordx4 s[0:3], s[2:3], 0x0
	s_mov_b32 s6, 0xd10d4986
	s_mov_b32 s7, 0x3f6c5894
	v_sub_nc_u32_e32 v20, v60, v19
	v_lshrrev_b32_e32 v20, 1, v20
	v_add_nc_u32_e32 v19, v20, v19
	v_lshrrev_b32_e32 v19, 2, v19
	v_mul_lo_u32 v19, v19, 7
	v_sub_nc_u32_e32 v19, v60, v19
	v_mul_u32_u24_e32 v19, 0x121, v19
	v_lshlrev_b32_e32 v19, 3, v19
	v_add_nc_u32_e32 v83, v31, v19
	s_waitcnt vmcnt(18)
	v_mul_f32_e32 v42, v1, v82
	v_mul_f32_e32 v20, v0, v82
	s_waitcnt vmcnt(17)
	v_mul_f32_e32 v44, v3, v80
	v_fmac_f32_e32 v42, v0, v81
	v_fma_f32 v43, v1, v81, -v20
	v_mul_f32_e32 v1, v2, v80
	v_fmac_f32_e32 v44, v2, v79
	v_fma_f32 v45, v3, v79, -v1
	ds_write2_b64 v83, v[42:43], v[44:45] offset1:17
	s_waitcnt vmcnt(16)
	v_mul_f32_e32 v0, v5, v76
	v_mul_f32_e32 v20, v4, v76
	s_waitcnt vmcnt(15)
	v_mul_f32_e32 v2, v7, v74
	v_mul_f32_e32 v31, v6, v74
	v_fmac_f32_e32 v0, v4, v75
	v_fma_f32 v1, v5, v75, -v20
	v_fmac_f32_e32 v2, v6, v73
	v_fma_f32 v3, v7, v73, -v31
	s_waitcnt vmcnt(14)
	v_mul_f32_e32 v4, v9, v78
	v_mul_f32_e32 v5, v8, v78
	s_waitcnt vmcnt(13)
	v_mul_f32_e32 v6, v11, v72
	ds_write2_b64 v83, v[0:1], v[2:3] offset0:34 offset1:51
	v_fmac_f32_e32 v4, v8, v77
	v_mul_f32_e32 v1, v10, v72
	s_waitcnt vmcnt(12)
	v_mul_f32_e32 v0, v13, v70
	v_mul_f32_e32 v3, v12, v70
	s_waitcnt vmcnt(11)
	v_mul_f32_e32 v2, v15, v66
	v_mul_f32_e32 v8, v14, v66
	v_fma_f32 v5, v9, v77, -v5
	v_fmac_f32_e32 v6, v10, v71
	v_fma_f32 v7, v11, v71, -v1
	v_fmac_f32_e32 v0, v12, v69
	;; [unrolled: 2-line block ×3, first 2 shown]
	v_fma_f32 v3, v15, v65, -v8
	ds_write2_b64 v83, v[4:5], v[6:7] offset0:68 offset1:85
	s_waitcnt vmcnt(10)
	v_mul_f32_e32 v8, v17, v68
	v_mul_f32_e32 v9, v16, v68
	s_waitcnt vmcnt(9)
	v_mul_f32_e32 v4, v24, v64
	ds_write2_b64 v83, v[0:1], v[2:3] offset0:102 offset1:119
	v_mul_f32_e32 v1, v23, v64
	s_waitcnt vmcnt(8)
	v_mul_f32_e32 v3, v21, v62
	v_mul_f32_e32 v0, v22, v62
	v_fmac_f32_e32 v8, v16, v67
	v_fma_f32 v9, v17, v67, -v9
	s_waitcnt vmcnt(7)
	v_mul_f32_e32 v7, v27, v55
	v_mul_f32_e32 v2, v28, v55
	v_fma_f32 v5, v24, v63, -v1
	v_fma_f32 v1, v22, v61, -v3
	v_fmac_f32_e32 v4, v23, v63
	s_waitcnt vmcnt(6)
	v_mul_f32_e32 v6, v26, v53
	v_fma_f32 v3, v28, v54, -v7
	v_mul_f32_e32 v7, v25, v53
	v_fmac_f32_e32 v0, v21, v61
	v_fmac_f32_e32 v2, v27, v54
	s_waitcnt vmcnt(5)
	v_mul_f32_e32 v10, v35, v51
	v_mul_f32_e32 v11, v34, v51
	v_fmac_f32_e32 v6, v25, v52
	v_fma_f32 v7, v26, v52, -v7
	s_waitcnt vmcnt(4)
	v_mul_f32_e32 v12, v30, v49
	v_mul_f32_e32 v13, v29, v49
	v_fmac_f32_e32 v10, v34, v50
	s_waitcnt vmcnt(2)
	v_mul_f32_e32 v14, v41, v57
	v_mul_f32_e32 v15, v40, v57
	s_waitcnt vmcnt(0)
	v_mul_f32_e32 v16, v39, v59
	v_mul_f32_e32 v17, v38, v59
	v_fma_f32 v11, v35, v50, -v11
	v_fmac_f32_e32 v12, v29, v48
	v_fma_f32 v13, v30, v48, -v13
	v_fmac_f32_e32 v14, v40, v56
	;; [unrolled: 2-line block ×3, first 2 shown]
	v_fma_f32 v17, v39, v58, -v17
	ds_write2_b64 v83, v[8:9], v[4:5] offset0:136 offset1:153
	ds_write2_b64 v83, v[0:1], v[2:3] offset0:170 offset1:187
	;; [unrolled: 1-line block ×4, first 2 shown]
	ds_write_b64 v83, v[16:17] offset:2176
	s_waitcnt lgkmcnt(0)
	s_barrier
	buffer_gl0_inv
	ds_read2_b64 v[4:7], v83 offset1:17
	ds_read_b64 v[16:17], v83 offset:2176
	ds_read2_b64 v[8:11], v83 offset0:34 offset1:51
	ds_read2_b64 v[0:3], v83 offset0:238 offset1:255
	s_waitcnt lgkmcnt(3)
	v_add_f32_e32 v14, v4, v6
	v_add_f32_e32 v15, v5, v7
	s_waitcnt lgkmcnt(2)
	v_add_f32_e32 v12, v16, v6
	v_add_f32_e32 v13, v17, v7
	v_sub_f32_e32 v6, v6, v16
	v_sub_f32_e32 v7, v7, v17
	s_waitcnt lgkmcnt(0)
	v_add_f32_e32 v35, v2, v8
	v_add_f32_e32 v38, v3, v9
	v_sub_f32_e32 v20, v8, v2
	v_sub_f32_e32 v21, v9, v3
	v_sub_f32_e32 v41, v10, v0
	v_sub_f32_e32 v30, v11, v1
	v_add_f32_e32 v8, v14, v8
	v_add_f32_e32 v9, v15, v9
	v_mul_f32_e32 v15, 0xbeb8f4ab, v6
	v_mul_f32_e32 v42, 0xbf2c7751, v7
	v_mul_f32_e32 v43, 0xbf2c7751, v6
	v_mul_f32_e32 v44, 0xbf65296c, v7
	v_mul_f32_e32 v45, 0xbf65296c, v6
	v_add_f32_e32 v39, v0, v10
	v_add_f32_e32 v40, v1, v11
	v_mul_f32_e32 v14, 0xbeb8f4ab, v7
	v_mul_f32_e32 v46, 0xbf7ee86f, v7
	;; [unrolled: 1-line block ×43, first 2 shown]
	v_add_f32_e32 v109, v8, v10
	v_add_f32_e32 v110, v9, v11
	v_fmamk_f32 v9, v13, 0x3f6eb680, v15
	v_fma_f32 v10, 0x3f6eb680, v13, -v15
	v_fma_f32 v11, 0x3f3d2fb0, v12, -v42
	v_fmamk_f32 v15, v13, 0x3f3d2fb0, v43
	v_fmac_f32_e32 v42, 0x3f3d2fb0, v12
	v_fma_f32 v43, 0x3f3d2fb0, v13, -v43
	v_fma_f32 v111, 0x3ee437d1, v12, -v44
	v_fmamk_f32 v112, v13, 0x3ee437d1, v45
	v_fmac_f32_e32 v44, 0x3ee437d1, v12
	v_fma_f32 v45, 0x3ee437d1, v13, -v45
	v_fma_f32 v8, 0x3f6eb680, v12, -v14
	v_fmac_f32_e32 v14, 0x3f6eb680, v12
	v_fma_f32 v113, 0x3dbcf732, v12, -v46
	v_fmamk_f32 v114, v13, 0x3dbcf732, v47
	v_fmac_f32_e32 v46, 0x3dbcf732, v12
	v_fma_f32 v47, 0x3dbcf732, v13, -v47
	v_fma_f32 v115, 0xbe8c1d8e, v12, -v85
	v_fmamk_f32 v116, v13, 0xbe8c1d8e, v86
	v_fmac_f32_e32 v85, 0xbe8c1d8e, v12
	v_fma_f32 v86, 0xbe8c1d8e, v13, -v86
	;; [unrolled: 4-line block ×12, first 2 shown]
	v_fma_f32 v135, 0x3f6eb680, v35, -v23
	v_fmac_f32_e32 v23, 0x3f6eb680, v35
	v_fmamk_f32 v35, v38, 0x3f6eb680, v101
	v_fma_f32 v101, 0x3f6eb680, v38, -v101
	v_fma_f32 v136, 0x3ee437d1, v39, -v22
	v_fmac_f32_e32 v22, 0x3ee437d1, v39
	v_fma_f32 v137, 0xbf1a4643, v39, -v21
	v_fmac_f32_e32 v21, 0xbf1a4643, v39
	;; [unrolled: 2-line block ×8, first 2 shown]
	v_fmamk_f32 v144, v40, 0x3ee437d1, v102
	v_fma_f32 v102, 0x3ee437d1, v40, -v102
	v_fmamk_f32 v145, v40, 0xbf1a4643, v103
	v_fma_f32 v103, 0xbf1a4643, v40, -v103
	;; [unrolled: 2-line block ×8, first 2 shown]
	ds_read2_b64 v[38:41], v83 offset0:68 offset1:85
	v_add_f32_e32 v154, v4, v42
	v_add_f32_e32 v155, v5, v43
	;; [unrolled: 1-line block ×4, first 2 shown]
	ds_read2_b64 v[42:45], v83 offset0:204 offset1:221
	v_add_f32_e32 v8, v4, v8
	v_add_f32_e32 v9, v5, v9
	;; [unrolled: 1-line block ×8, first 2 shown]
	ds_read2_b64 v[8:11], v83 offset0:102 offset1:119
	v_add_f32_e32 v47, v5, v47
	v_add_f32_e32 v14, v4, v14
	v_add_f32_e32 v15, v5, v15
	v_add_f32_e32 v111, v4, v111
	v_add_f32_e32 v113, v4, v113
	v_add_f32_e32 v114, v5, v114
	v_add_f32_e32 v46, v4, v46
	v_add_f32_e32 v115, v4, v115
	v_add_f32_e32 v116, v5, v116
	v_add_f32_e32 v85, v4, v85
	v_add_f32_e32 v86, v5, v86
	v_add_f32_e32 v117, v4, v117
	v_add_f32_e32 v118, v5, v118
	v_add_f32_e32 v87, v4, v87
	v_add_f32_e32 v88, v5, v88
	v_add_f32_e32 v119, v4, v119
	v_add_f32_e32 v120, v5, v120
	v_add_f32_e32 v89, v4, v89
	v_add_f32_e32 v90, v5, v90
	v_add_f32_e32 v121, v4, v121
	v_add_f32_e32 v122, v5, v122
	v_add_f32_e32 v158, v4, v7
	v_add_f32_e32 v159, v5, v6
	ds_read2_b64 v[4:7], v83 offset0:136 offset1:153
	v_add_f32_e32 v112, v126, v112
	s_waitcnt lgkmcnt(2)
	v_sub_f32_e32 v126, v39, v45
	v_add_f32_e32 v47, v97, v47
	v_add_f32_e32 v97, v45, v39
	;; [unrolled: 1-line block ×6, first 2 shown]
	v_sub_f32_e32 v46, v38, v44
	v_add_f32_e32 v38, v109, v38
	v_add_f32_e32 v39, v39, v41
	;; [unrolled: 1-line block ×4, first 2 shown]
	ds_read2_b64 v[12:15], v83 offset0:170 offset1:187
	v_add_f32_e32 v38, v38, v40
	s_waitcnt lgkmcnt(2)
	v_add_f32_e32 v39, v39, v9
	v_add_f32_e32 v31, v31, v85
	;; [unrolled: 1-line block ×7, first 2 shown]
	v_mul_f32_e32 v89, 0xbf06c442, v126
	v_add_f32_e32 v123, v123, v153
	v_add_f32_e32 v38, v38, v10
	s_waitcnt lgkmcnt(1)
	v_add_f32_e32 v39, v39, v5
	v_add_f32_e32 v93, v93, v154
	v_add_f32_e32 v95, v95, v156
	v_add_f32_e32 v96, v96, v157
	v_add_f32_e32 v38, v38, v4
	v_add_f32_e32 v39, v39, v7
	v_add_f32_e32 v114, v128, v114
	v_add_f32_e32 v115, v129, v115
	v_add_f32_e32 v27, v27, v87
	v_add_f32_e32 v38, v38, v6
	s_waitcnt lgkmcnt(0)
	v_add_f32_e32 v39, v39, v13
	v_mul_f32_e32 v87, 0x3eb8f4ab, v126
	v_add_f32_e32 v88, v99, v88
	v_add_f32_e32 v119, v133, v119
	;; [unrolled: 1-line block ×4, first 2 shown]
	v_mul_f32_e32 v131, 0xbf65296c, v126
	v_add_f32_e32 v90, v100, v90
	v_mul_f32_e32 v100, 0xbf06c442, v46
	v_add_f32_e32 v38, v38, v14
	v_add_f32_e32 v39, v39, v43
	v_mul_f32_e32 v133, 0x3f4c4adb, v126
	v_add_f32_e32 v110, v138, v111
	v_fma_f32 v111, 0xbf59a7d5, v125, -v89
	v_add_f32_e32 v38, v38, v42
	v_add_f32_e32 v39, v39, v45
	;; [unrolled: 1-line block ×8, first 2 shown]
	v_mul_f32_e32 v127, 0xbf7ee86f, v126
	v_add_f32_e32 v121, v135, v121
	v_add_f32_e32 v0, v38, v0
	;; [unrolled: 1-line block ×4, first 2 shown]
	v_mul_f32_e32 v122, 0x3f4c4adb, v46
	v_add_f32_e32 v123, v137, v123
	v_fma_f32 v137, 0x3f6eb680, v125, -v87
	v_fmac_f32_e32 v87, 0x3f6eb680, v125
	v_add_f32_e32 v21, v21, v93
	v_fma_f32 v93, 0x3ee437d1, v125, -v131
	v_add_f32_e32 v20, v20, v95
	v_add_f32_e32 v95, v104, v96
	;; [unrolled: 1-line block ×11, first 2 shown]
	v_fmamk_f32 v108, v97, 0xbf59a7d5, v100
	v_fma_f32 v100, 0xbf59a7d5, v97, -v100
	v_fma_f32 v114, 0xbf1a4643, v125, -v133
	v_add_f32_e32 v0, v0, v2
	v_add_f32_e32 v2, v111, v86
	;; [unrolled: 1-line block ×3, first 2 shown]
	v_mul_f32_e32 v17, 0x3f2c7751, v126
	v_sub_f32_e32 v86, v41, v43
	v_add_f32_e32 v116, v130, v116
	v_mul_f32_e32 v128, 0xbf7ee86f, v46
	v_mul_f32_e32 v98, 0xbe3c28d5, v46
	v_add_f32_e32 v118, v132, v118
	v_mul_f32_e32 v130, 0x3f763a35, v46
	v_mul_f32_e32 v99, 0x3eb8f4ab, v46
	v_add_f32_e32 v120, v134, v120
	v_mul_f32_e32 v132, 0xbf65296c, v46
	v_add_f32_e32 v23, v23, v158
	v_fma_f32 v134, 0x3dbcf732, v125, -v127
	v_add_f32_e32 v101, v101, v159
	v_add_f32_e32 v136, v136, v160
	;; [unrolled: 1-line block ×8, first 2 shown]
	v_fma_f32 v45, 0xbf1a4643, v97, -v122
	v_fma_f32 v47, 0x3f3d2fb0, v125, -v17
	v_mul_f32_e32 v46, 0x3f2c7751, v46
	v_add_f32_e32 v87, v42, v40
	v_mul_f32_e32 v88, 0xbf763a35, v86
	v_add_f32_e32 v94, v94, v155
	v_mul_f32_e32 v85, 0xbe3c28d5, v126
	v_fmac_f32_e32 v127, 0x3dbcf732, v125
	v_add_f32_e32 v22, v22, v91
	v_add_f32_e32 v35, v151, v35
	;; [unrolled: 1-line block ×7, first 2 shown]
	v_fmamk_f32 v47, v97, 0x3f3d2fb0, v46
	v_sub_f32_e32 v40, v40, v42
	v_fmac_f32_e32 v17, 0x3f3d2fb0, v125
	v_fma_f32 v42, 0x3f3d2fb0, v97, -v46
	v_add_f32_e32 v41, v43, v41
	v_fma_f32 v43, 0xbe8c1d8e, v87, -v88
	v_mul_f32_e32 v129, 0x3f763a35, v126
	v_fmamk_f32 v135, v97, 0x3dbcf732, v128
	v_fma_f32 v128, 0x3dbcf732, v97, -v128
	v_fma_f32 v153, 0xbf7ba420, v125, -v85
	v_fmamk_f32 v154, v97, 0xbf7ba420, v98
	v_fmac_f32_e32 v85, 0xbf7ba420, v125
	v_fma_f32 v98, 0xbf7ba420, v97, -v98
	v_add_f32_e32 v92, v102, v92
	v_add_f32_e32 v94, v103, v94
	v_fmac_f32_e32 v89, 0xbf59a7d5, v125
	v_add_f32_e32 v22, v127, v22
	v_mul_f32_e32 v46, 0xbf763a35, v40
	v_add_f32_e32 v35, v47, v35
	v_add_f32_e32 v17, v17, v23
	;; [unrolled: 1-line block ×4, first 2 shown]
	v_mul_f32_e32 v43, 0x3f06c442, v86
	v_fmac_f32_e32 v88, 0xbe8c1d8e, v87
	v_mul_f32_e32 v47, 0x3f06c442, v40
	v_fma_f32 v91, 0xbe8c1d8e, v125, -v129
	v_add_f32_e32 v92, v128, v92
	v_add_f32_e32 v21, v85, v21
	;; [unrolled: 1-line block ×4, first 2 shown]
	v_fmamk_f32 v42, v41, 0xbe8c1d8e, v46
	v_fma_f32 v46, 0xbe8c1d8e, v41, -v46
	v_fma_f32 v89, 0xbf59a7d5, v87, -v43
	v_add_f32_e32 v22, v88, v22
	v_fmamk_f32 v88, v41, 0xbf59a7d5, v47
	v_mul_f32_e32 v90, 0x3f2c7751, v86
	v_fmac_f32_e32 v43, 0xbf59a7d5, v87
	v_fma_f32 v47, 0xbf59a7d5, v41, -v47
	v_fmamk_f32 v102, v97, 0xbe8c1d8e, v130
	v_fmac_f32_e32 v129, 0xbe8c1d8e, v125
	v_fma_f32 v130, 0xbe8c1d8e, v97, -v130
	v_add_f32_e32 v112, v146, v112
	v_add_f32_e32 v96, v139, v113
	;; [unrolled: 1-line block ×4, first 2 shown]
	v_fma_f32 v92, 0x3f3d2fb0, v87, -v90
	v_mul_f32_e32 v93, 0x3f2c7751, v40
	v_add_f32_e32 v21, v43, v21
	v_add_f32_e32 v43, v47, v85
	v_mul_f32_e32 v47, 0xbf65296c, v86
	v_add_f32_e32 v124, v145, v124
	v_fmamk_f32 v145, v97, 0x3f6eb680, v99
	v_fma_f32 v99, 0x3f6eb680, v97, -v99
	v_fmamk_f32 v103, v97, 0x3ee437d1, v132
	v_fma_f32 v109, 0x3ee437d1, v97, -v132
	v_fmamk_f32 v115, v97, 0xbf1a4643, v122
	v_add_f32_e32 v94, v102, v112
	v_add_f32_e32 v20, v129, v20
	;; [unrolled: 1-line block ×5, first 2 shown]
	v_fmamk_f32 v91, v41, 0x3f3d2fb0, v93
	v_fmac_f32_e32 v90, 0x3f3d2fb0, v87
	v_fma_f32 v92, 0x3f3d2fb0, v41, -v93
	v_fma_f32 v93, 0x3ee437d1, v87, -v47
	v_mul_f32_e32 v97, 0xbf65296c, v40
	v_add_f32_e32 v105, v148, v116
	v_add_f32_e32 v34, v99, v34
	;; [unrolled: 1-line block ×6, first 2 shown]
	v_mul_f32_e32 v94, 0xbe3c28d5, v86
	v_fmac_f32_e32 v47, 0x3ee437d1, v87
	v_fma_f32 v95, 0x3ee437d1, v41, -v97
	v_mul_f32_e32 v96, 0xbe3c28d5, v40
	v_add_f32_e32 v38, v103, v105
	v_fmamk_f32 v93, v41, 0x3ee437d1, v97
	v_fma_f32 v97, 0xbf7ba420, v87, -v94
	v_add_f32_e32 v25, v47, v25
	v_add_f32_e32 v34, v95, v34
	v_fmamk_f32 v47, v41, 0xbf7ba420, v96
	v_mul_f32_e32 v95, 0x3f7ee86f, v86
	v_fmac_f32_e32 v131, 0x3ee437d1, v125
	v_add_f32_e32 v106, v149, v118
	v_add_f32_e32 v98, v145, v104
	;; [unrolled: 1-line block ×4, first 2 shown]
	v_fma_f32 v47, 0x3dbcf732, v87, -v95
	v_mul_f32_e32 v97, 0x3f7ee86f, v40
	v_add_f32_e32 v107, v150, v120
	v_add_f32_e32 v26, v131, v26
	v_add_f32_e32 v3, v108, v106
	v_add_f32_e32 v93, v93, v98
	v_fmac_f32_e32 v94, 0xbf7ba420, v87
	v_add_f32_e32 v2, v47, v2
	v_fmamk_f32 v47, v41, 0x3dbcf732, v97
	v_mul_f32_e32 v98, 0xbeb8f4ab, v40
	v_add_f32_e32 v31, v109, v31
	v_fmac_f32_e32 v133, 0xbf1a4643, v125
	v_add_f32_e32 v39, v115, v107
	v_fma_f32 v96, 0xbf7ba420, v41, -v96
	v_add_f32_e32 v26, v94, v26
	v_mul_f32_e32 v94, 0xbeb8f4ab, v86
	v_add_f32_e32 v3, v47, v3
	v_fmamk_f32 v47, v41, 0x3f6eb680, v98
	v_mul_f32_e32 v86, 0xbf4c4adb, v86
	v_add_f32_e32 v24, v133, v24
	v_add_f32_e32 v31, v96, v31
	v_fma_f32 v96, 0x3dbcf732, v41, -v97
	v_fma_f32 v97, 0x3f6eb680, v87, -v94
	v_fmac_f32_e32 v94, 0x3f6eb680, v87
	v_add_f32_e32 v39, v47, v39
	v_fma_f32 v47, 0xbf1a4643, v87, -v86
	v_add_f32_e32 v144, v144, v161
	v_mul_f32_e32 v40, 0xbf4c4adb, v40
	v_add_f32_e32 v24, v94, v24
	v_sub_f32_e32 v94, v9, v15
	v_add_f32_e32 v45, v47, v45
	v_add_f32_e32 v47, v14, v8
	v_sub_f32_e32 v8, v8, v14
	v_add_f32_e32 v113, v135, v144
	v_fmac_f32_e32 v95, 0x3dbcf732, v87
	v_add_f32_e32 v16, v96, v16
	v_fmamk_f32 v96, v41, 0xbf1a4643, v40
	v_mul_f32_e32 v14, 0xbf4c4adb, v94
	v_fmac_f32_e32 v86, 0xbf1a4643, v87
	v_fma_f32 v40, 0xbf1a4643, v41, -v40
	v_add_f32_e32 v9, v15, v9
	v_mul_f32_e32 v15, 0xbf4c4adb, v8
	v_add_f32_e32 v116, v153, v123
	v_add_f32_e32 v42, v42, v113
	;; [unrolled: 1-line block ×3, first 2 shown]
	v_fma_f32 v95, 0x3f6eb680, v41, -v98
	v_fma_f32 v41, 0xbf1a4643, v47, -v14
	v_add_f32_e32 v17, v86, v17
	v_add_f32_e32 v23, v40, v23
	v_mul_f32_e32 v40, 0x3f763a35, v94
	v_fmamk_f32 v86, v9, 0xbf1a4643, v15
	v_add_f32_e32 v89, v89, v116
	v_add_f32_e32 v30, v41, v30
	v_fmac_f32_e32 v14, 0xbf1a4643, v47
	v_fma_f32 v15, 0xbf1a4643, v9, -v15
	v_fma_f32 v41, 0xbe8c1d8e, v47, -v40
	v_add_f32_e32 v42, v86, v42
	v_mul_f32_e32 v86, 0x3f763a35, v8
	v_add_f32_e32 v117, v154, v124
	v_add_f32_e32 v14, v14, v22
	;; [unrolled: 1-line block ×4, first 2 shown]
	v_mul_f32_e32 v41, 0xbeb8f4ab, v94
	v_fmamk_f32 v46, v9, 0xbe8c1d8e, v86
	v_fmac_f32_e32 v40, 0xbe8c1d8e, v47
	v_fma_f32 v86, 0xbe8c1d8e, v9, -v86
	v_mul_f32_e32 v87, 0xbeb8f4ab, v8
	v_add_f32_e32 v88, v88, v117
	v_fma_f32 v89, 0x3f6eb680, v47, -v41
	v_add_f32_e32 v21, v40, v21
	v_add_f32_e32 v40, v86, v43
	v_fmamk_f32 v43, v9, 0x3f6eb680, v87
	v_mul_f32_e32 v86, 0xbf06c442, v94
	v_fmac_f32_e32 v41, 0x3f6eb680, v47
	v_fma_f32 v87, 0x3f6eb680, v9, -v87
	v_add_f32_e32 v46, v46, v88
	v_add_f32_e32 v85, v89, v85
	v_mul_f32_e32 v88, 0xbf06c442, v8
	v_fma_f32 v89, 0xbf59a7d5, v47, -v86
	v_add_f32_e32 v20, v41, v20
	v_add_f32_e32 v41, v87, v90
	v_mul_f32_e32 v87, 0x3f7ee86f, v94
	v_add_f32_e32 v43, v43, v91
	v_fmamk_f32 v90, v9, 0xbf59a7d5, v88
	v_add_f32_e32 v89, v89, v92
	v_fma_f32 v88, 0xbf59a7d5, v9, -v88
	v_fma_f32 v91, 0x3dbcf732, v47, -v87
	v_mul_f32_e32 v92, 0x3f7ee86f, v8
	v_fmac_f32_e32 v86, 0xbf59a7d5, v47
	v_fmac_f32_e32 v87, 0x3dbcf732, v47
	v_add_f32_e32 v34, v88, v34
	v_add_f32_e32 v44, v91, v44
	v_fmamk_f32 v88, v9, 0x3dbcf732, v92
	v_fma_f32 v91, 0x3dbcf732, v9, -v92
	v_mul_f32_e32 v92, 0xbf2c7751, v8
	v_add_f32_e32 v25, v86, v25
	v_mul_f32_e32 v86, 0xbf2c7751, v94
	v_add_f32_e32 v26, v87, v26
	v_add_f32_e32 v90, v90, v93
	v_fmamk_f32 v87, v9, 0x3f3d2fb0, v92
	v_add_f32_e32 v38, v88, v38
	v_fma_f32 v93, 0x3f3d2fb0, v47, -v86
	v_add_f32_e32 v31, v91, v31
	v_mul_f32_e32 v88, 0xbe3c28d5, v94
	v_fmac_f32_e32 v86, 0x3f3d2fb0, v47
	v_fma_f32 v91, 0x3f3d2fb0, v9, -v92
	v_add_f32_e32 v3, v87, v3
	v_mul_f32_e32 v87, 0xbe3c28d5, v8
	v_add_f32_e32 v28, v97, v28
	v_add_f32_e32 v29, v95, v29
	v_fma_f32 v92, 0xbf7ba420, v47, -v88
	v_add_f32_e32 v27, v86, v27
	v_add_f32_e32 v16, v91, v16
	v_mul_f32_e32 v86, 0x3f65296c, v94
	v_fmamk_f32 v91, v9, 0xbf7ba420, v87
	v_fma_f32 v87, 0xbf7ba420, v9, -v87
	v_add_f32_e32 v28, v92, v28
	v_fmac_f32_e32 v88, 0xbf7ba420, v47
	v_fma_f32 v92, 0x3ee437d1, v47, -v86
	v_mul_f32_e32 v8, 0x3f65296c, v8
	v_add_f32_e32 v29, v87, v29
	v_sub_f32_e32 v87, v11, v13
	v_fmac_f32_e32 v86, 0x3ee437d1, v47
	v_sub_f32_e32 v47, v10, v12
	v_add_f32_e32 v35, v96, v35
	v_add_f32_e32 v24, v88, v24
	v_fmamk_f32 v88, v9, 0x3ee437d1, v8
	v_add_f32_e32 v10, v12, v10
	v_mul_f32_e32 v12, 0xbf06c442, v87
	v_fma_f32 v8, 0x3ee437d1, v9, -v8
	v_add_f32_e32 v9, v13, v11
	v_mul_f32_e32 v11, 0xbf06c442, v47
	v_add_f32_e32 v13, v88, v35
	v_fma_f32 v35, 0xbf59a7d5, v10, -v12
	v_add_f32_e32 v17, v86, v17
	v_add_f32_e32 v8, v8, v23
	v_fmamk_f32 v23, v9, 0xbf59a7d5, v11
	v_mul_f32_e32 v86, 0x3f65296c, v87
	v_fmac_f32_e32 v12, 0xbf59a7d5, v10
	v_add_f32_e32 v30, v35, v30
	v_fma_f32 v11, 0xbf59a7d5, v9, -v11
	v_add_f32_e32 v23, v23, v42
	v_fma_f32 v35, 0x3ee437d1, v10, -v86
	v_mul_f32_e32 v42, 0x3f65296c, v47
	v_add_f32_e32 v12, v12, v14
	v_mul_f32_e32 v14, 0xbf7ee86f, v87
	v_add_f32_e32 v11, v11, v15
	v_add_f32_e32 v15, v35, v22
	v_fmamk_f32 v22, v9, 0x3ee437d1, v42
	v_fma_f32 v35, 0x3ee437d1, v9, -v42
	v_fma_f32 v42, 0x3dbcf732, v10, -v14
	v_mul_f32_e32 v88, 0xbf7ee86f, v47
	v_fmac_f32_e32 v86, 0x3ee437d1, v10
	v_add_f32_e32 v22, v22, v46
	v_add_f32_e32 v35, v35, v40
	;; [unrolled: 1-line block ×3, first 2 shown]
	v_fmamk_f32 v42, v9, 0x3dbcf732, v88
	v_mul_f32_e32 v46, 0x3f4c4adb, v87
	v_fmac_f32_e32 v14, 0x3dbcf732, v10
	v_fma_f32 v85, 0x3dbcf732, v9, -v88
	v_add_f32_e32 v21, v86, v21
	v_mul_f32_e32 v86, 0x3f4c4adb, v47
	v_add_f32_e32 v42, v42, v43
	v_fma_f32 v43, 0xbf1a4643, v10, -v46
	v_add_f32_e32 v14, v14, v20
	v_add_f32_e32 v20, v85, v41
	v_mul_f32_e32 v85, 0xbeb8f4ab, v87
	v_fmac_f32_e32 v46, 0xbf1a4643, v10
	v_fmamk_f32 v41, v9, 0xbf1a4643, v86
	v_add_f32_e32 v43, v43, v89
	v_fma_f32 v86, 0xbf1a4643, v9, -v86
	v_fma_f32 v88, 0x3f6eb680, v10, -v85
	v_mul_f32_e32 v89, 0xbeb8f4ab, v47
	v_add_f32_e32 v25, v46, v25
	v_mul_f32_e32 v46, 0xbe3c28d5, v87
	v_add_f32_e32 v2, v93, v2
	v_add_f32_e32 v41, v41, v90
	;; [unrolled: 1-line block ×4, first 2 shown]
	v_fmamk_f32 v86, v9, 0x3f6eb680, v89
	v_fmac_f32_e32 v85, 0x3f6eb680, v10
	v_fma_f32 v88, 0x3f6eb680, v9, -v89
	v_fma_f32 v89, 0xbf7ba420, v10, -v46
	v_mul_f32_e32 v90, 0xbe3c28d5, v47
	v_fmac_f32_e32 v46, 0xbf7ba420, v10
	v_add_f32_e32 v26, v85, v26
	v_add_f32_e32 v31, v88, v31
	;; [unrolled: 1-line block ×3, first 2 shown]
	v_fmamk_f32 v2, v9, 0xbf7ba420, v90
	v_fma_f32 v88, 0xbf7ba420, v9, -v90
	v_mul_f32_e32 v89, 0x3f2c7751, v47
	v_add_f32_e32 v39, v91, v39
	v_add_f32_e32 v38, v86, v38
	v_mul_f32_e32 v86, 0x3f2c7751, v87
	v_add_f32_e32 v90, v2, v3
	v_add_f32_e32 v27, v46, v27
	;; [unrolled: 1-line block ×3, first 2 shown]
	v_fmamk_f32 v3, v9, 0x3f3d2fb0, v89
	v_mul_f32_e32 v16, 0xbf763a35, v87
	v_add_f32_e32 v45, v92, v45
	v_fma_f32 v2, 0x3f3d2fb0, v10, -v86
	v_mul_f32_e32 v47, 0xbf763a35, v47
	v_add_f32_e32 v39, v3, v39
	v_fma_f32 v3, 0xbe8c1d8e, v10, -v16
	v_sub_f32_e32 v88, v5, v7
	v_add_f32_e32 v28, v2, v28
	v_fma_f32 v2, 0x3f3d2fb0, v9, -v89
	v_add_f32_e32 v89, v6, v4
	v_add_f32_e32 v45, v3, v45
	v_sub_f32_e32 v91, v4, v6
	v_mul_f32_e32 v4, 0xbe3c28d5, v88
	v_fma_f32 v3, 0xbe8c1d8e, v9, -v47
	v_add_f32_e32 v87, v2, v29
	v_fmamk_f32 v2, v9, 0xbe8c1d8e, v47
	v_fmac_f32_e32 v16, 0xbe8c1d8e, v10
	v_add_f32_e32 v47, v7, v5
	v_mul_f32_e32 v5, 0xbe3c28d5, v91
	v_fma_f32 v6, 0xbf7ba420, v89, -v4
	v_add_f32_e32 v94, v3, v8
	v_mul_f32_e32 v8, 0x3eb8f4ab, v88
	v_fmac_f32_e32 v4, 0xbf7ba420, v89
	v_add_f32_e32 v92, v2, v13
	v_add_f32_e32 v93, v16, v17
	v_fmamk_f32 v3, v47, 0xbf7ba420, v5
	v_add_f32_e32 v2, v6, v30
	v_fma_f32 v5, 0xbf7ba420, v47, -v5
	v_mul_f32_e32 v7, 0x3eb8f4ab, v91
	v_fma_f32 v6, 0x3f6eb680, v89, -v8
	v_add_f32_e32 v4, v4, v12
	v_mul_f32_e32 v12, 0xbf06c442, v88
	v_fmac_f32_e32 v8, 0x3f6eb680, v89
	v_mul_f32_e32 v16, 0x3f2c7751, v88
	v_fmac_f32_e32 v86, 0x3f3d2fb0, v10
	v_add_f32_e32 v5, v5, v11
	v_fmamk_f32 v9, v47, 0x3f6eb680, v7
	v_add_f32_e32 v6, v6, v15
	v_fma_f32 v10, 0x3f6eb680, v47, -v7
	v_fma_f32 v11, 0xbf59a7d5, v89, -v12
	v_mul_f32_e32 v13, 0xbf06c442, v91
	v_add_f32_e32 v8, v8, v21
	v_fmac_f32_e32 v12, 0xbf59a7d5, v89
	v_mul_f32_e32 v15, 0x3f2c7751, v91
	v_fma_f32 v17, 0x3f3d2fb0, v89, -v16
	v_mul_f32_e32 v21, 0xbf4c4adb, v91
	v_add_f32_e32 v86, v86, v24
	v_add_f32_e32 v3, v3, v23
	;; [unrolled: 1-line block ×5, first 2 shown]
	v_fmamk_f32 v11, v47, 0xbf59a7d5, v13
	v_fma_f32 v13, 0xbf59a7d5, v47, -v13
	v_add_f32_e32 v12, v12, v14
	v_add_f32_e32 v14, v17, v43
	v_fma_f32 v17, 0x3f3d2fb0, v47, -v15
	v_fmamk_f32 v23, v47, 0xbf1a4643, v21
	v_fma_f32 v24, 0xbf1a4643, v47, -v21
	v_add_f32_e32 v13, v13, v20
	v_fmamk_f32 v20, v47, 0x3f3d2fb0, v15
	v_mul_f32_e32 v22, 0xbf4c4adb, v88
	v_fmac_f32_e32 v16, 0x3f3d2fb0, v89
	v_add_f32_e32 v17, v17, v34
	v_mul_f32_e32 v29, 0x3f65296c, v88
	v_add_f32_e32 v21, v23, v38
	v_add_f32_e32 v23, v24, v31
	v_mul_f32_e32 v31, 0xbf763a35, v88
	v_mul_f32_e32 v34, 0xbf763a35, v91
	v_add_f32_e32 v15, v20, v41
	v_fma_f32 v20, 0xbf1a4643, v89, -v22
	v_add_f32_e32 v16, v16, v25
	v_fmac_f32_e32 v22, 0xbf1a4643, v89
	v_fma_f32 v25, 0x3ee437d1, v89, -v29
	v_mul_f32_e32 v30, 0x3f65296c, v91
	v_fmac_f32_e32 v29, 0x3ee437d1, v89
	v_fma_f32 v35, 0xbe8c1d8e, v89, -v31
	v_fmamk_f32 v38, v47, 0xbe8c1d8e, v34
	v_add_f32_e32 v22, v22, v26
	v_add_f32_e32 v24, v25, v85
	v_fmamk_f32 v25, v47, 0x3ee437d1, v30
	v_fma_f32 v30, 0x3ee437d1, v47, -v30
	v_add_f32_e32 v26, v29, v27
	v_add_f32_e32 v28, v35, v28
	v_fmac_f32_e32 v31, 0xbe8c1d8e, v89
	v_add_f32_e32 v29, v38, v39
	v_fma_f32 v34, 0xbe8c1d8e, v47, -v34
	v_mul_f32_e32 v38, 0x3f7ee86f, v88
	v_mul_f32_e32 v35, 0x3f7ee86f, v91
	v_and_b32_e32 v40, 0xffff, v18
	v_add_f32_e32 v27, v30, v46
	v_add_f32_e32 v30, v31, v86
	;; [unrolled: 1-line block ×3, first 2 shown]
	v_fma_f32 v34, 0x3dbcf732, v89, -v38
	v_fmamk_f32 v39, v47, 0x3dbcf732, v35
	v_fmac_f32_e32 v38, 0x3dbcf732, v89
	v_fma_f32 v41, 0x3dbcf732, v47, -v35
	v_lshl_add_u32 v85, v40, 3, v19
	v_add_f32_e32 v11, v11, v42
	v_add_f32_e32 v20, v20, v44
	;; [unrolled: 1-line block ×7, first 2 shown]
	s_barrier
	buffer_gl0_inv
	ds_write2_b64 v85, v[0:1], v[2:3] offset1:1
	ds_write2_b64 v85, v[6:7], v[10:11] offset0:2 offset1:3
	ds_write2_b64 v85, v[14:15], v[20:21] offset0:4 offset1:5
	;; [unrolled: 1-line block ×7, first 2 shown]
	v_lshlrev_b32_e32 v8, 7, v84
	ds_write_b64 v85, v[4:5] offset:128
	s_waitcnt lgkmcnt(0)
	s_barrier
	buffer_gl0_inv
	s_clause 0x7
	global_load_dwordx4 v[28:31], v8, s[10:11]
	global_load_dwordx4 v[24:27], v8, s[10:11] offset:16
	global_load_dwordx4 v[20:23], v8, s[10:11] offset:32
	;; [unrolled: 1-line block ×7, first 2 shown]
	ds_read2_b64 v[98:101], v83 offset1:17
	ds_read2_b64 v[38:41], v83 offset0:34 offset1:51
	ds_read2_b64 v[42:45], v83 offset0:68 offset1:85
	;; [unrolled: 1-line block ×7, first 2 shown]
	ds_read_b64 v[34:35], v83 offset:2176
	s_waitcnt vmcnt(7) lgkmcnt(7)
	v_mul_f32_e32 v123, v38, v31
	v_mul_f32_e32 v122, v100, v29
	;; [unrolled: 1-line block ×4, first 2 shown]
	s_waitcnt vmcnt(6) lgkmcnt(6)
	v_mul_f32_e32 v92, v42, v27
	v_fmac_f32_e32 v123, v39, v30
	v_mul_f32_e32 v39, v43, v27
	v_fmac_f32_e32 v122, v101, v28
	v_fma_f32 v101, v38, v30, -v47
	v_mul_f32_e32 v38, v41, v25
	v_fma_f32 v100, v100, v28, -v46
	v_fma_f32 v93, v42, v26, -v39
	s_waitcnt vmcnt(4) lgkmcnt(5)
	v_mul_f32_e32 v39, v105, v5
	v_mul_f32_e32 v46, v45, v21
	v_fma_f32 v97, v40, v24, -v38
	v_fmac_f32_e32 v92, v43, v26
	v_mul_f32_e32 v38, v103, v23
	v_mul_f32_e32 v42, v104, v5
	v_fma_f32 v43, v104, v4, -v39
	s_waitcnt vmcnt(1) lgkmcnt(0)
	v_mul_f32_e32 v104, v35, v3
	v_mul_f32_e32 v96, v40, v25
	v_fma_f32 v89, v44, v20, -v46
	v_mul_f32_e32 v46, v102, v23
	v_fma_f32 v47, v102, v22, -v38
	v_fmac_f32_e32 v42, v105, v4
	v_mul_f32_e32 v40, v107, v7
	v_mul_f32_e32 v38, v106, v7
	v_mul_f32_e32 v102, v34, v3
	v_fma_f32 v34, v34, v2, -v104
	v_mul_f32_e32 v105, v121, v1
	v_fma_f32 v40, v106, v6, -v40
	v_fmac_f32_e32 v38, v107, v6
	v_fmac_f32_e32 v102, v35, v2
	v_mul_f32_e32 v106, v120, v1
	v_add_f32_e32 v107, v100, v34
	v_fma_f32 v105, v120, v0, -v105
	v_sub_f32_e32 v120, v100, v34
	v_add_f32_e32 v100, v98, v100
	v_sub_f32_e32 v35, v122, v102
	v_add_f32_e32 v125, v122, v102
	v_add_f32_e32 v122, v99, v122
	v_fmac_f32_e32 v96, v41, v24
	v_add_f32_e32 v100, v100, v101
	v_mul_f32_e32 v88, v44, v21
	v_fmac_f32_e32 v46, v103, v22
	v_add_f32_e32 v122, v122, v123
	v_mul_f32_e32 v41, v109, v17
	v_add_f32_e32 v100, v100, v97
	v_fmac_f32_e32 v88, v45, v20
	v_mul_f32_e32 v39, v108, v17
	v_add_f32_e32 v122, v122, v96
	v_mul_f32_e32 v44, v111, v19
	v_add_f32_e32 v100, v100, v93
	v_fma_f32 v41, v108, v16, -v41
	v_fmac_f32_e32 v39, v109, v16
	v_add_f32_e32 v122, v122, v92
	v_fma_f32 v45, v110, v18, -v44
	v_add_f32_e32 v100, v100, v89
	v_mul_f32_e32 v44, v110, v19
	v_mul_f32_e32 v87, v113, v13
	v_add_f32_e32 v122, v122, v88
	v_mul_f32_e32 v86, v112, v13
	v_add_f32_e32 v100, v100, v47
	v_mul_f32_e32 v91, v115, v15
	v_fmac_f32_e32 v44, v111, v18
	v_add_f32_e32 v122, v122, v46
	v_fma_f32 v87, v112, v12, -v87
	v_add_f32_e32 v100, v100, v43
	v_mul_f32_e32 v90, v114, v15
	v_fmac_f32_e32 v86, v113, v12
	v_add_f32_e32 v122, v122, v42
	v_fma_f32 v91, v114, v14, -v91
	v_add_f32_e32 v100, v100, v40
	s_waitcnt vmcnt(0)
	v_mul_f32_e32 v95, v117, v9
	v_mul_f32_e32 v103, v119, v11
	v_add_f32_e32 v122, v122, v38
	v_mul_f32_e32 v104, v118, v11
	v_add_f32_e32 v100, v100, v41
	v_fmac_f32_e32 v90, v115, v14
	v_mul_f32_e32 v94, v116, v9
	v_add_f32_e32 v122, v122, v39
	v_fma_f32 v95, v116, v8, -v95
	v_add_f32_e32 v100, v100, v45
	v_fma_f32 v103, v118, v10, -v103
	v_mul_f32_e32 v108, 0xbeb8f4ab, v35
	v_add_f32_e32 v122, v122, v44
	v_fmac_f32_e32 v104, v119, v10
	v_add_f32_e32 v100, v100, v87
	v_mul_f32_e32 v109, 0xbf2c7751, v35
	v_mul_f32_e32 v111, 0xbf65296c, v35
	;; [unrolled: 1-line block ×15, first 2 shown]
	v_add_f32_e32 v122, v122, v86
	v_add_f32_e32 v100, v100, v91
	v_fmac_f32_e32 v94, v117, v8
	v_fmac_f32_e32 v106, v121, v0
	v_fma_f32 v110, 0x3f6eb680, v107, -v108
	v_fmac_f32_e32 v108, 0x3f6eb680, v107
	v_fma_f32 v112, 0x3f3d2fb0, v107, -v109
	;; [unrolled: 2-line block ×8, first 2 shown]
	v_fmac_f32_e32 v35, 0xbf7ba420, v107
	v_fmamk_f32 v107, v125, 0x3f6eb680, v126
	v_fma_f32 v126, 0x3f6eb680, v125, -v126
	v_fmamk_f32 v130, v125, 0x3f3d2fb0, v127
	v_fmamk_f32 v133, v125, 0x3ee437d1, v129
	;; [unrolled: 1-line block ×7, first 2 shown]
	v_add_f32_e32 v122, v122, v90
	v_add_f32_e32 v100, v100, v95
	v_fma_f32 v127, 0x3f3d2fb0, v125, -v127
	v_fma_f32 v129, 0x3ee437d1, v125, -v129
	;; [unrolled: 1-line block ×7, first 2 shown]
	v_add_f32_e32 v125, v99, v126
	v_add_f32_e32 v126, v99, v130
	;; [unrolled: 1-line block ×10, first 2 shown]
	v_sub_f32_e32 v140, v123, v106
	v_add_f32_e32 v110, v98, v110
	v_add_f32_e32 v108, v98, v108
	;; [unrolled: 1-line block ×18, first 2 shown]
	v_sub_f32_e32 v122, v101, v105
	v_add_f32_e32 v101, v101, v105
	v_mul_f32_e32 v105, 0xbf2c7751, v140
	v_add_f32_e32 v107, v99, v107
	v_add_f32_e32 v127, v99, v127
	;; [unrolled: 1-line block ×9, first 2 shown]
	v_mul_f32_e32 v123, 0xbf2c7751, v122
	v_add_f32_e32 v99, v99, v120
	v_fma_f32 v120, 0x3f3d2fb0, v101, -v105
	v_add_f32_e32 v34, v100, v34
	v_add_f32_e32 v35, v35, v102
	v_fmamk_f32 v100, v106, 0x3f3d2fb0, v123
	v_mul_f32_e32 v102, 0xbf7ee86f, v140
	v_add_f32_e32 v110, v120, v110
	v_fmac_f32_e32 v105, 0x3f3d2fb0, v101
	v_fma_f32 v120, 0x3f3d2fb0, v106, -v123
	v_add_f32_e32 v100, v100, v107
	v_fma_f32 v107, 0x3dbcf732, v101, -v102
	v_mul_f32_e32 v123, 0xbf7ee86f, v122
	v_add_f32_e32 v105, v105, v108
	v_add_f32_e32 v108, v120, v125
	v_mul_f32_e32 v120, 0xbf4c4adb, v140
	v_add_f32_e32 v107, v107, v112
	v_fmamk_f32 v112, v106, 0x3dbcf732, v123
	v_fmac_f32_e32 v102, 0x3dbcf732, v101
	v_fma_f32 v123, 0x3dbcf732, v106, -v123
	v_fma_f32 v125, 0xbf1a4643, v101, -v120
	v_mul_f32_e32 v141, 0xbf4c4adb, v122
	v_add_f32_e32 v112, v112, v126
	v_add_f32_e32 v102, v102, v109
	v_add_f32_e32 v109, v123, v127
	v_add_f32_e32 v115, v125, v115
	v_fmamk_f32 v123, v106, 0xbf1a4643, v141
	v_mul_f32_e32 v125, 0xbe3c28d5, v140
	v_fmac_f32_e32 v120, 0xbf1a4643, v101
	v_fma_f32 v126, 0xbf1a4643, v106, -v141
	v_mul_f32_e32 v127, 0xbe3c28d5, v122
	v_add_f32_e32 v123, v123, v130
	v_fma_f32 v130, 0xbf7ba420, v101, -v125
	v_add_f32_e32 v111, v120, v111
	v_add_f32_e32 v120, v126, v129
	v_fmamk_f32 v126, v106, 0xbf7ba420, v127
	v_mul_f32_e32 v129, 0x3f06c442, v140
	v_fmac_f32_e32 v125, 0xbf7ba420, v101
	v_fma_f32 v127, 0xbf7ba420, v106, -v127
	v_add_f32_e32 v116, v130, v116
	v_add_f32_e32 v126, v126, v133
	v_fma_f32 v130, 0xbf59a7d5, v101, -v129
	v_mul_f32_e32 v133, 0x3f06c442, v122
	v_add_f32_e32 v113, v125, v113
	v_add_f32_e32 v125, v127, v131
	v_mul_f32_e32 v127, 0x3f763a35, v140
	v_add_f32_e32 v117, v130, v117
	v_fmamk_f32 v130, v106, 0xbf59a7d5, v133
	v_fmac_f32_e32 v129, 0xbf59a7d5, v101
	v_fma_f32 v131, 0xbf59a7d5, v106, -v133
	v_fma_f32 v133, 0xbe8c1d8e, v101, -v127
	v_mul_f32_e32 v141, 0x3f763a35, v122
	v_add_f32_e32 v130, v130, v134
	v_add_f32_e32 v114, v129, v114
	;; [unrolled: 1-line block ×4, first 2 shown]
	v_fmamk_f32 v131, v106, 0xbe8c1d8e, v141
	v_fmac_f32_e32 v127, 0xbe8c1d8e, v101
	v_mul_f32_e32 v132, 0x3f65296c, v140
	v_mul_f32_e32 v133, 0x3f65296c, v122
	v_fma_f32 v134, 0xbe8c1d8e, v106, -v141
	v_add_f32_e32 v131, v131, v135
	v_add_f32_e32 v118, v127, v118
	v_fma_f32 v127, 0x3ee437d1, v101, -v132
	v_fmamk_f32 v135, v106, 0x3ee437d1, v133
	v_add_f32_e32 v134, v134, v136
	v_fmac_f32_e32 v132, 0x3ee437d1, v101
	v_mul_f32_e32 v136, 0x3eb8f4ab, v140
	v_mul_f32_e32 v122, 0x3eb8f4ab, v122
	v_fma_f32 v133, 0x3ee437d1, v106, -v133
	v_add_f32_e32 v124, v127, v124
	v_add_f32_e32 v127, v135, v138
	;; [unrolled: 1-line block ×3, first 2 shown]
	v_fma_f32 v132, 0x3f6eb680, v101, -v136
	v_fmac_f32_e32 v136, 0x3f6eb680, v101
	v_fmamk_f32 v101, v106, 0x3f6eb680, v122
	v_sub_f32_e32 v135, v96, v104
	v_fma_f32 v106, 0x3f6eb680, v106, -v122
	v_add_f32_e32 v122, v133, v137
	v_sub_f32_e32 v133, v97, v103
	v_add_f32_e32 v97, v97, v103
	v_mul_f32_e32 v103, 0xbf65296c, v135
	v_add_f32_e32 v96, v96, v104
	v_add_f32_e32 v128, v132, v128
	v_mul_f32_e32 v104, 0xbf65296c, v133
	v_add_f32_e32 v98, v136, v98
	v_fma_f32 v132, 0x3ee437d1, v97, -v103
	v_add_f32_e32 v99, v106, v99
	v_mul_f32_e32 v136, 0xbf4c4adb, v135
	v_fmamk_f32 v106, v96, 0x3ee437d1, v104
	v_fmac_f32_e32 v103, 0x3ee437d1, v97
	v_add_f32_e32 v110, v132, v110
	v_fma_f32 v104, 0x3ee437d1, v96, -v104
	v_mul_f32_e32 v132, 0xbf4c4adb, v133
	v_add_f32_e32 v100, v106, v100
	v_fma_f32 v106, 0xbf1a4643, v97, -v136
	v_add_f32_e32 v103, v103, v105
	v_mul_f32_e32 v105, 0x3e3c28d5, v135
	v_add_f32_e32 v104, v104, v108
	v_fmac_f32_e32 v136, 0xbf1a4643, v97
	v_add_f32_e32 v106, v106, v107
	v_fmamk_f32 v107, v96, 0xbf1a4643, v132
	v_fma_f32 v108, 0xbf1a4643, v96, -v132
	v_fma_f32 v132, 0xbf7ba420, v97, -v105
	v_mul_f32_e32 v137, 0x3e3c28d5, v133
	v_add_f32_e32 v102, v136, v102
	v_add_f32_e32 v107, v107, v112
	;; [unrolled: 1-line block ×4, first 2 shown]
	v_fmamk_f32 v112, v96, 0xbf7ba420, v137
	v_mul_f32_e32 v115, 0x3f763a35, v135
	v_fmac_f32_e32 v105, 0xbf7ba420, v97
	v_fma_f32 v132, 0xbf7ba420, v96, -v137
	v_mul_f32_e32 v136, 0x3f763a35, v133
	v_add_f32_e32 v112, v112, v123
	v_fma_f32 v123, 0xbe8c1d8e, v97, -v115
	v_add_f32_e32 v105, v105, v111
	v_add_f32_e32 v111, v132, v120
	v_fmamk_f32 v120, v96, 0xbe8c1d8e, v136
	v_mul_f32_e32 v132, 0x3f2c7751, v135
	v_add_f32_e32 v116, v123, v116
	v_fmac_f32_e32 v115, 0xbe8c1d8e, v97
	v_fma_f32 v123, 0xbe8c1d8e, v96, -v136
	v_add_f32_e32 v120, v120, v126
	v_fma_f32 v126, 0x3f3d2fb0, v97, -v132
	v_mul_f32_e32 v136, 0x3f2c7751, v133
	v_add_f32_e32 v113, v115, v113
	v_add_f32_e32 v115, v123, v125
	v_mul_f32_e32 v123, 0xbeb8f4ab, v135
	v_add_f32_e32 v117, v126, v117
	v_fmamk_f32 v125, v96, 0x3f3d2fb0, v136
	v_fmac_f32_e32 v132, 0x3f3d2fb0, v97
	v_fma_f32 v126, 0x3f3d2fb0, v96, -v136
	v_mul_f32_e32 v137, 0xbeb8f4ab, v133
	v_fma_f32 v136, 0x3f6eb680, v97, -v123
	v_add_f32_e32 v125, v125, v130
	v_add_f32_e32 v114, v132, v114
	;; [unrolled: 1-line block ×3, first 2 shown]
	v_fmamk_f32 v129, v96, 0x3f6eb680, v137
	v_fmac_f32_e32 v123, 0x3f6eb680, v97
	v_mul_f32_e32 v130, 0xbf7ee86f, v135
	v_mul_f32_e32 v132, 0xbf7ee86f, v133
	;; [unrolled: 1-line block ×3, first 2 shown]
	v_add_f32_e32 v129, v129, v131
	v_add_f32_e32 v118, v123, v118
	v_fma_f32 v123, 0x3dbcf732, v97, -v130
	v_fmamk_f32 v131, v96, 0x3dbcf732, v132
	v_fmac_f32_e32 v130, 0x3dbcf732, v97
	v_add_f32_e32 v101, v101, v139
	v_add_f32_e32 v121, v136, v121
	v_add_f32_e32 v123, v123, v124
	v_add_f32_e32 v124, v131, v127
	v_mul_f32_e32 v127, 0xbf06c442, v133
	v_fma_f32 v131, 0x3dbcf732, v96, -v132
	v_sub_f32_e32 v132, v92, v94
	v_fma_f32 v136, 0x3f6eb680, v96, -v137
	v_add_f32_e32 v119, v130, v119
	v_fma_f32 v130, 0xbf59a7d5, v97, -v135
	v_fmac_f32_e32 v135, 0xbf59a7d5, v97
	v_fmamk_f32 v97, v96, 0xbf59a7d5, v127
	v_fma_f32 v96, 0xbf59a7d5, v96, -v127
	v_sub_f32_e32 v127, v93, v95
	v_add_f32_e32 v93, v93, v95
	v_mul_f32_e32 v95, 0xbf7ee86f, v132
	v_add_f32_e32 v92, v92, v94
	v_add_f32_e32 v97, v97, v101
	v_mul_f32_e32 v94, 0xbf7ee86f, v127
	v_add_f32_e32 v128, v130, v128
	v_fma_f32 v101, 0x3dbcf732, v93, -v95
	v_add_f32_e32 v96, v96, v99
	v_mul_f32_e32 v130, 0xbe3c28d5, v132
	v_fmamk_f32 v99, v92, 0x3dbcf732, v94
	v_fma_f32 v94, 0x3dbcf732, v92, -v94
	v_add_f32_e32 v101, v101, v110
	v_mul_f32_e32 v110, 0xbe3c28d5, v127
	v_add_f32_e32 v122, v131, v122
	v_fmac_f32_e32 v95, 0x3dbcf732, v93
	v_fma_f32 v131, 0xbf7ba420, v93, -v130
	v_add_f32_e32 v99, v99, v100
	v_add_f32_e32 v94, v94, v104
	v_fmamk_f32 v100, v92, 0xbf7ba420, v110
	v_mul_f32_e32 v104, 0x3f763a35, v132
	v_add_f32_e32 v95, v95, v103
	v_add_f32_e32 v103, v131, v106
	v_fmac_f32_e32 v130, 0xbf7ba420, v93
	v_fma_f32 v106, 0xbf7ba420, v92, -v110
	v_mul_f32_e32 v110, 0x3f763a35, v127
	v_add_f32_e32 v100, v100, v107
	v_fma_f32 v107, 0xbe8c1d8e, v93, -v104
	v_add_f32_e32 v102, v130, v102
	v_add_f32_e32 v106, v106, v108
	v_fmamk_f32 v108, v92, 0xbe8c1d8e, v110
	v_mul_f32_e32 v130, 0x3eb8f4ab, v132
	v_add_f32_e32 v107, v107, v109
	v_fmac_f32_e32 v104, 0xbe8c1d8e, v93
	v_fma_f32 v109, 0xbe8c1d8e, v92, -v110
	v_mul_f32_e32 v110, 0x3eb8f4ab, v127
	v_fma_f32 v131, 0x3f6eb680, v93, -v130
	v_add_f32_e32 v108, v108, v112
	v_add_f32_e32 v104, v104, v105
	;; [unrolled: 1-line block ×3, first 2 shown]
	v_fmamk_f32 v109, v92, 0x3f6eb680, v110
	v_mul_f32_e32 v112, 0xbf65296c, v132
	v_add_f32_e32 v111, v131, v116
	v_fmac_f32_e32 v130, 0x3f6eb680, v93
	v_fma_f32 v110, 0x3f6eb680, v92, -v110
	v_mul_f32_e32 v116, 0xbf65296c, v127
	v_add_f32_e32 v109, v109, v120
	v_fma_f32 v120, 0x3ee437d1, v93, -v112
	v_add_f32_e32 v113, v130, v113
	v_add_f32_e32 v110, v110, v115
	v_fmamk_f32 v115, v92, 0x3ee437d1, v116
	v_mul_f32_e32 v130, 0xbf06c442, v132
	v_add_f32_e32 v117, v120, v117
	v_fmac_f32_e32 v112, 0x3ee437d1, v93
	v_fma_f32 v116, 0x3ee437d1, v92, -v116
	v_mul_f32_e32 v120, 0xbf06c442, v127
	v_fma_f32 v131, 0xbf59a7d5, v93, -v130
	v_add_f32_e32 v115, v115, v125
	v_add_f32_e32 v112, v112, v114
	;; [unrolled: 1-line block ×3, first 2 shown]
	v_fmamk_f32 v116, v92, 0xbf59a7d5, v120
	v_fmac_f32_e32 v130, 0xbf59a7d5, v93
	v_mul_f32_e32 v125, 0x3f4c4adb, v132
	v_mul_f32_e32 v126, 0x3f4c4adb, v127
	v_add_f32_e32 v121, v131, v121
	v_add_f32_e32 v116, v116, v129
	;; [unrolled: 1-line block ×3, first 2 shown]
	v_fma_f32 v129, 0xbf1a4643, v93, -v125
	v_fmamk_f32 v130, v92, 0xbf1a4643, v126
	v_fma_f32 v126, 0xbf1a4643, v92, -v126
	v_fmac_f32_e32 v125, 0xbf1a4643, v93
	v_mul_f32_e32 v131, 0x3f2c7751, v132
	v_add_f32_e32 v123, v129, v123
	v_mul_f32_e32 v127, 0x3f2c7751, v127
	v_sub_f32_e32 v129, v88, v90
	v_add_f32_e32 v122, v126, v122
	v_add_f32_e32 v126, v89, v91
	v_sub_f32_e32 v89, v89, v91
	v_fma_f32 v120, 0xbf59a7d5, v92, -v120
	v_add_f32_e32 v119, v125, v119
	v_fma_f32 v125, 0x3f3d2fb0, v93, -v131
	v_fmac_f32_e32 v131, 0x3f3d2fb0, v93
	v_fmamk_f32 v93, v92, 0x3f3d2fb0, v127
	v_fma_f32 v92, 0x3f3d2fb0, v92, -v127
	v_mul_f32_e32 v91, 0xbf763a35, v129
	v_add_f32_e32 v88, v88, v90
	v_mul_f32_e32 v90, 0xbf763a35, v89
	v_add_f32_e32 v93, v93, v97
	v_add_f32_e32 v92, v92, v96
	v_fma_f32 v97, 0xbe8c1d8e, v126, -v91
	v_mul_f32_e32 v96, 0x3f06c442, v129
	v_fmamk_f32 v127, v88, 0xbe8c1d8e, v90
	v_fmac_f32_e32 v91, 0xbe8c1d8e, v126
	v_fma_f32 v90, 0xbe8c1d8e, v88, -v90
	v_add_f32_e32 v97, v97, v101
	v_fma_f32 v101, 0xbf59a7d5, v126, -v96
	v_add_f32_e32 v99, v127, v99
	v_mul_f32_e32 v127, 0x3f06c442, v89
	v_add_f32_e32 v91, v91, v95
	v_add_f32_e32 v90, v90, v94
	;; [unrolled: 1-line block ×3, first 2 shown]
	v_mul_f32_e32 v95, 0x3f2c7751, v129
	v_fmamk_f32 v101, v88, 0xbf59a7d5, v127
	v_fmac_f32_e32 v96, 0xbf59a7d5, v126
	v_fma_f32 v103, 0xbf59a7d5, v88, -v127
	v_mul_f32_e32 v127, 0x3f2c7751, v89
	v_add_f32_e32 v125, v125, v128
	v_fma_f32 v128, 0x3f3d2fb0, v126, -v95
	v_add_f32_e32 v96, v96, v102
	v_add_f32_e32 v100, v101, v100
	v_fmamk_f32 v102, v88, 0x3f3d2fb0, v127
	v_add_f32_e32 v101, v103, v106
	v_add_f32_e32 v103, v128, v107
	v_mul_f32_e32 v106, 0xbf65296c, v129
	v_fmac_f32_e32 v95, 0x3f3d2fb0, v126
	v_fma_f32 v107, 0x3f3d2fb0, v88, -v127
	v_add_f32_e32 v102, v102, v108
	v_mul_f32_e32 v108, 0xbf65296c, v89
	v_fma_f32 v127, 0x3ee437d1, v126, -v106
	v_add_f32_e32 v95, v95, v104
	v_add_f32_e32 v104, v107, v105
	v_mul_f32_e32 v105, 0xbe3c28d5, v129
	v_fmamk_f32 v107, v88, 0x3ee437d1, v108
	v_fmac_f32_e32 v106, 0x3ee437d1, v126
	v_add_f32_e32 v111, v127, v111
	v_fma_f32 v108, 0x3ee437d1, v88, -v108
	v_fma_f32 v127, 0xbf7ba420, v126, -v105
	v_add_f32_e32 v107, v107, v109
	v_mul_f32_e32 v109, 0xbe3c28d5, v89
	v_add_f32_e32 v106, v106, v113
	v_mul_f32_e32 v113, 0x3f7ee86f, v129
	v_add_f32_e32 v134, v136, v134
	v_add_f32_e32 v108, v108, v110
	;; [unrolled: 1-line block ×3, first 2 shown]
	v_fmamk_f32 v117, v88, 0xbf7ba420, v109
	v_fmac_f32_e32 v105, 0xbf7ba420, v126
	v_fma_f32 v109, 0xbf7ba420, v88, -v109
	v_mul_f32_e32 v127, 0x3f7ee86f, v89
	v_fma_f32 v128, 0x3dbcf732, v126, -v113
	v_add_f32_e32 v120, v120, v134
	v_add_f32_e32 v115, v117, v115
	;; [unrolled: 1-line block ×4, first 2 shown]
	v_fmamk_f32 v112, v88, 0x3dbcf732, v127
	v_add_f32_e32 v114, v128, v121
	v_fmac_f32_e32 v113, 0x3dbcf732, v126
	v_fma_f32 v117, 0x3dbcf732, v88, -v127
	v_mul_f32_e32 v121, 0xbeb8f4ab, v129
	v_add_f32_e32 v112, v112, v116
	v_mul_f32_e32 v116, 0xbeb8f4ab, v89
	v_add_f32_e32 v113, v113, v118
	v_add_f32_e32 v117, v117, v120
	v_fma_f32 v118, 0x3f6eb680, v126, -v121
	v_mul_f32_e32 v120, 0xbf4c4adb, v129
	v_fmac_f32_e32 v121, 0x3f6eb680, v126
	v_fmamk_f32 v127, v88, 0x3f6eb680, v116
	v_fma_f32 v116, 0x3f6eb680, v88, -v116
	v_add_f32_e32 v118, v118, v123
	v_fma_f32 v123, 0xbf1a4643, v126, -v120
	v_add_f32_e32 v119, v121, v119
	v_sub_f32_e32 v121, v46, v86
	v_add_f32_e32 v98, v135, v98
	v_add_f32_e32 v116, v116, v122
	;; [unrolled: 1-line block ×3, first 2 shown]
	v_mul_f32_e32 v89, 0xbf4c4adb, v89
	v_add_f32_e32 v123, v47, v87
	v_mul_f32_e32 v125, 0xbf4c4adb, v121
	v_sub_f32_e32 v47, v47, v87
	v_add_f32_e32 v98, v131, v98
	v_fmac_f32_e32 v120, 0xbf1a4643, v126
	v_fmamk_f32 v87, v88, 0xbf1a4643, v89
	v_fma_f32 v88, 0xbf1a4643, v88, -v89
	v_add_f32_e32 v46, v46, v86
	v_fma_f32 v86, 0xbf1a4643, v123, -v125
	v_mul_f32_e32 v89, 0xbf4c4adb, v47
	v_add_f32_e32 v87, v87, v93
	v_add_f32_e32 v93, v120, v98
	;; [unrolled: 1-line block ×4, first 2 shown]
	v_fmamk_f32 v92, v46, 0xbf1a4643, v89
	v_mul_f32_e32 v97, 0x3f763a35, v121
	v_fma_f32 v89, 0xbf1a4643, v46, -v89
	v_mul_f32_e32 v98, 0x3f763a35, v47
	v_mul_f32_e32 v120, 0xbeb8f4ab, v121
	v_add_f32_e32 v92, v92, v99
	v_fma_f32 v99, 0xbe8c1d8e, v123, -v97
	v_add_f32_e32 v89, v89, v90
	v_fmamk_f32 v90, v46, 0xbe8c1d8e, v98
	v_fmac_f32_e32 v97, 0xbe8c1d8e, v123
	v_fma_f32 v98, 0xbe8c1d8e, v46, -v98
	v_fmac_f32_e32 v125, 0xbf1a4643, v123
	v_add_f32_e32 v94, v99, v94
	v_add_f32_e32 v90, v90, v100
	v_fma_f32 v99, 0x3f6eb680, v123, -v120
	v_mul_f32_e32 v100, 0xbeb8f4ab, v47
	v_add_f32_e32 v96, v97, v96
	v_add_f32_e32 v97, v98, v101
	v_mul_f32_e32 v98, 0xbf06c442, v121
	v_add_f32_e32 v91, v125, v91
	v_add_f32_e32 v99, v99, v103
	v_fmamk_f32 v101, v46, 0x3f6eb680, v100
	v_fmac_f32_e32 v120, 0x3f6eb680, v123
	v_fma_f32 v100, 0x3f6eb680, v46, -v100
	v_fma_f32 v103, 0xbf59a7d5, v123, -v98
	v_mul_f32_e32 v125, 0xbf06c442, v47
	v_add_f32_e32 v101, v101, v102
	v_add_f32_e32 v95, v120, v95
	;; [unrolled: 1-line block ×4, first 2 shown]
	v_fmamk_f32 v103, v46, 0xbf59a7d5, v125
	v_mul_f32_e32 v104, 0x3f7ee86f, v121
	v_fmac_f32_e32 v98, 0xbf59a7d5, v123
	v_fma_f32 v111, 0xbf59a7d5, v46, -v125
	v_mul_f32_e32 v120, 0x3f7ee86f, v47
	v_add_f32_e32 v103, v103, v107
	v_fma_f32 v107, 0x3dbcf732, v123, -v104
	v_add_f32_e32 v98, v98, v106
	v_add_f32_e32 v106, v111, v108
	v_fmamk_f32 v108, v46, 0x3dbcf732, v120
	v_mul_f32_e32 v111, 0xbf2c7751, v121
	v_add_f32_e32 v107, v107, v110
	v_fmac_f32_e32 v104, 0x3dbcf732, v123
	v_fma_f32 v110, 0x3dbcf732, v46, -v120
	v_add_f32_e32 v108, v108, v115
	v_fma_f32 v115, 0x3f3d2fb0, v123, -v111
	v_mul_f32_e32 v120, 0xbf2c7751, v47
	v_add_f32_e32 v104, v104, v105
	v_add_f32_e32 v105, v110, v109
	v_mul_f32_e32 v109, 0xbe3c28d5, v121
	v_add_f32_e32 v110, v115, v114
	v_fmac_f32_e32 v111, 0x3f3d2fb0, v123
	v_fma_f32 v115, 0x3f3d2fb0, v46, -v120
	v_fmamk_f32 v114, v46, 0x3f3d2fb0, v120
	v_fma_f32 v120, 0xbf7ba420, v123, -v109
	v_mul_f32_e32 v125, 0xbe3c28d5, v47
	v_add_f32_e32 v111, v111, v113
	v_add_f32_e32 v113, v115, v117
	v_mul_f32_e32 v117, 0x3f65296c, v121
	v_add_f32_e32 v112, v114, v112
	v_add_f32_e32 v114, v120, v118
	v_fmac_f32_e32 v109, 0xbf7ba420, v123
	v_fma_f32 v118, 0xbf7ba420, v46, -v125
	v_fma_f32 v120, 0x3ee437d1, v123, -v117
	v_mul_f32_e32 v47, 0x3f65296c, v47
	v_fmamk_f32 v115, v46, 0xbf7ba420, v125
	v_add_f32_e32 v109, v109, v119
	v_add_f32_e32 v116, v118, v116
	v_sub_f32_e32 v118, v42, v44
	v_add_f32_e32 v119, v120, v122
	v_add_f32_e32 v120, v43, v45
	v_sub_f32_e32 v43, v43, v45
	v_fmamk_f32 v121, v46, 0x3ee437d1, v47
	v_mul_f32_e32 v45, 0xbf06c442, v118
	v_fmac_f32_e32 v117, 0x3ee437d1, v123
	v_fma_f32 v46, 0x3ee437d1, v46, -v47
	v_add_f32_e32 v42, v42, v44
	v_mul_f32_e32 v44, 0xbf06c442, v43
	v_fma_f32 v47, 0xbf59a7d5, v120, -v45
	v_add_f32_e32 v93, v117, v93
	v_add_f32_e32 v46, v46, v88
	v_mul_f32_e32 v88, 0x3f65296c, v118
	v_fmamk_f32 v117, v42, 0xbf59a7d5, v44
	v_fma_f32 v44, 0xbf59a7d5, v42, -v44
	v_add_f32_e32 v47, v47, v86
	v_fmac_f32_e32 v45, 0xbf59a7d5, v120
	v_fma_f32 v86, 0x3ee437d1, v120, -v88
	v_add_f32_e32 v92, v117, v92
	v_mul_f32_e32 v117, 0x3f65296c, v43
	v_add_f32_e32 v44, v44, v89
	v_mul_f32_e32 v89, 0xbf7ee86f, v118
	v_add_f32_e32 v87, v121, v87
	v_add_f32_e32 v45, v45, v91
	;; [unrolled: 1-line block ×3, first 2 shown]
	v_fmamk_f32 v91, v42, 0x3ee437d1, v117
	v_fmac_f32_e32 v88, 0x3ee437d1, v120
	v_fma_f32 v94, 0x3ee437d1, v42, -v117
	v_mul_f32_e32 v117, 0xbf7ee86f, v43
	v_fma_f32 v121, 0x3dbcf732, v120, -v89
	v_add_f32_e32 v90, v91, v90
	v_add_f32_e32 v88, v88, v96
	;; [unrolled: 1-line block ×3, first 2 shown]
	v_fmamk_f32 v94, v42, 0x3dbcf732, v117
	v_add_f32_e32 v96, v121, v99
	v_mul_f32_e32 v97, 0x3f4c4adb, v118
	v_fmac_f32_e32 v89, 0x3dbcf732, v120
	v_fma_f32 v99, 0x3dbcf732, v42, -v117
	v_add_f32_e32 v94, v94, v101
	v_mul_f32_e32 v101, 0x3f4c4adb, v43
	v_fma_f32 v117, 0xbf1a4643, v120, -v97
	v_add_f32_e32 v89, v89, v95
	v_add_f32_e32 v95, v99, v100
	v_mul_f32_e32 v99, 0xbeb8f4ab, v118
	v_fmamk_f32 v100, v42, 0xbf1a4643, v101
	v_add_f32_e32 v102, v117, v102
	v_fmac_f32_e32 v97, 0xbf1a4643, v120
	v_fma_f32 v101, 0xbf1a4643, v42, -v101
	v_fma_f32 v117, 0x3f6eb680, v120, -v99
	v_add_f32_e32 v100, v100, v103
	v_mul_f32_e32 v103, 0xbeb8f4ab, v43
	v_add_f32_e32 v97, v97, v98
	v_add_f32_e32 v98, v101, v106
	v_add_f32_e32 v101, v117, v107
	v_mul_f32_e32 v106, 0xbe3c28d5, v118
	v_fmac_f32_e32 v99, 0x3f6eb680, v120
	v_mul_f32_e32 v117, 0xbe3c28d5, v43
	v_add_f32_e32 v124, v130, v124
	v_fmamk_f32 v107, v42, 0x3f6eb680, v103
	v_fma_f32 v103, 0x3f6eb680, v42, -v103
	v_fma_f32 v121, 0xbf7ba420, v120, -v106
	v_add_f32_e32 v99, v99, v104
	v_fmamk_f32 v104, v42, 0xbf7ba420, v117
	v_add_f32_e32 v124, v127, v124
	v_add_f32_e32 v107, v107, v108
	;; [unrolled: 1-line block ×4, first 2 shown]
	v_mul_f32_e32 v108, 0x3f2c7751, v118
	v_fmac_f32_e32 v106, 0xbf7ba420, v120
	v_fma_f32 v110, 0xbf7ba420, v42, -v117
	v_add_f32_e32 v104, v104, v112
	v_mul_f32_e32 v112, 0x3f2c7751, v43
	v_add_f32_e32 v115, v115, v124
	v_fma_f32 v117, 0x3f3d2fb0, v120, -v108
	v_add_f32_e32 v106, v106, v111
	v_add_f32_e32 v110, v110, v113
	v_mul_f32_e32 v111, 0xbf763a35, v118
	v_fmamk_f32 v113, v42, 0x3f3d2fb0, v112
	v_add_f32_e32 v114, v117, v114
	v_fmac_f32_e32 v108, 0x3f3d2fb0, v120
	v_fma_f32 v112, 0x3f3d2fb0, v42, -v112
	v_fma_f32 v117, 0xbe8c1d8e, v120, -v111
	v_add_f32_e32 v113, v113, v115
	v_sub_f32_e32 v115, v38, v39
	v_mul_f32_e32 v43, 0xbf763a35, v43
	v_add_f32_e32 v108, v108, v109
	v_add_f32_e32 v109, v112, v116
	;; [unrolled: 1-line block ×3, first 2 shown]
	v_sub_f32_e32 v117, v40, v41
	v_add_f32_e32 v118, v40, v41
	v_mul_f32_e32 v40, 0xbe3c28d5, v115
	v_fma_f32 v41, 0xbe8c1d8e, v42, -v43
	v_add_f32_e32 v119, v38, v39
	v_fmamk_f32 v116, v42, 0xbe8c1d8e, v43
	v_fmac_f32_e32 v111, 0xbe8c1d8e, v120
	v_fma_f32 v38, 0xbf7ba420, v118, -v40
	v_mul_f32_e32 v39, 0xbe3c28d5, v117
	v_add_f32_e32 v120, v41, v46
	v_mul_f32_e32 v46, 0x3eb8f4ab, v115
	v_fmac_f32_e32 v40, 0xbf7ba420, v118
	v_add_f32_e32 v38, v38, v47
	v_mul_f32_e32 v47, 0x3eb8f4ab, v117
	v_add_f32_e32 v116, v116, v87
	v_fmamk_f32 v41, v119, 0xbf7ba420, v39
	v_fma_f32 v42, 0xbf7ba420, v119, -v39
	v_fma_f32 v43, 0x3f6eb680, v118, -v46
	v_add_f32_e32 v40, v40, v45
	v_mul_f32_e32 v87, 0xbf06c442, v115
	v_fma_f32 v45, 0x3f6eb680, v119, -v47
	v_add_f32_e32 v39, v41, v92
	v_add_f32_e32 v41, v42, v44
	;; [unrolled: 1-line block ×3, first 2 shown]
	v_fmamk_f32 v43, v119, 0x3f6eb680, v47
	v_fmac_f32_e32 v46, 0x3f6eb680, v118
	v_fma_f32 v47, 0xbf59a7d5, v118, -v87
	v_mul_f32_e32 v86, 0xbf06c442, v117
	v_add_f32_e32 v45, v45, v91
	v_fmac_f32_e32 v87, 0xbf59a7d5, v118
	v_mul_f32_e32 v91, 0x3f2c7751, v117
	v_add_f32_e32 v43, v43, v90
	v_add_f32_e32 v44, v46, v88
	;; [unrolled: 1-line block ×3, first 2 shown]
	v_fmamk_f32 v47, v119, 0xbf59a7d5, v86
	v_mul_f32_e32 v90, 0x3f2c7751, v115
	v_fma_f32 v88, 0xbf59a7d5, v119, -v86
	v_add_f32_e32 v86, v87, v89
	v_fmamk_f32 v89, v119, 0x3f3d2fb0, v91
	v_fma_f32 v91, 0x3f3d2fb0, v119, -v91
	v_add_f32_e32 v111, v111, v93
	v_fma_f32 v92, 0x3f3d2fb0, v118, -v90
	v_fmac_f32_e32 v90, 0x3f3d2fb0, v118
	v_mul_f32_e32 v93, 0xbf4c4adb, v117
	v_add_f32_e32 v91, v91, v98
	v_mul_f32_e32 v98, 0x3f65296c, v115
	v_add_f32_e32 v47, v47, v94
	v_add_f32_e32 v87, v88, v95
	v_mul_f32_e32 v94, 0xbf4c4adb, v115
	v_add_f32_e32 v89, v89, v100
	v_add_f32_e32 v90, v90, v97
	v_fmamk_f32 v95, v119, 0xbf1a4643, v93
	v_fma_f32 v96, 0xbf1a4643, v119, -v93
	v_fma_f32 v97, 0x3ee437d1, v118, -v98
	v_mul_f32_e32 v100, 0x3f65296c, v117
	v_add_f32_e32 v88, v92, v102
	v_fma_f32 v92, 0xbf1a4643, v118, -v94
	v_fmac_f32_e32 v94, 0xbf1a4643, v118
	v_add_f32_e32 v93, v95, v107
	v_add_f32_e32 v95, v96, v103
	;; [unrolled: 1-line block ×3, first 2 shown]
	v_fmamk_f32 v97, v119, 0x3ee437d1, v100
	v_mul_f32_e32 v102, 0xbf763a35, v115
	v_fmac_f32_e32 v98, 0x3ee437d1, v118
	v_mul_f32_e32 v103, 0xbf763a35, v117
	v_add_f32_e32 v94, v94, v99
	v_fma_f32 v99, 0x3ee437d1, v119, -v100
	v_add_f32_e32 v97, v97, v104
	v_fma_f32 v100, 0xbe8c1d8e, v118, -v102
	v_add_f32_e32 v98, v98, v106
	v_fmac_f32_e32 v102, 0xbe8c1d8e, v118
	v_mul_f32_e32 v106, 0x3f7ee86f, v115
	v_mul_f32_e32 v104, 0x3f7ee86f, v117
	v_add_f32_e32 v92, v92, v101
	v_fmamk_f32 v101, v119, 0xbe8c1d8e, v103
	v_add_f32_e32 v102, v102, v108
	v_fma_f32 v105, 0x3dbcf732, v118, -v106
	v_fmamk_f32 v107, v119, 0x3dbcf732, v104
	v_fmac_f32_e32 v106, 0x3dbcf732, v118
	v_fma_f32 v108, 0x3dbcf732, v119, -v104
	v_fma_f32 v103, 0xbe8c1d8e, v119, -v103
	v_add_f32_e32 v100, v100, v114
	v_add_f32_e32 v101, v101, v113
	;; [unrolled: 1-line block ×8, first 2 shown]
	ds_write2_b64 v83, v[34:35], v[38:39] offset1:17
	ds_write2_b64 v83, v[42:43], v[46:47] offset0:34 offset1:51
	ds_write2_b64 v83, v[88:89], v[92:93] offset0:68 offset1:85
	;; [unrolled: 1-line block ×7, first 2 shown]
	ds_write_b64 v83, v[40:41] offset:2176
	v_add_co_u32 v34, vcc_lo, 0x908, v36
	v_add_co_ci_u32_e32 v35, vcc_lo, 0, v37, vcc_lo
	s_waitcnt lgkmcnt(0)
	s_barrier
	buffer_gl0_inv
	s_clause 0xe
	global_load_dwordx2 v[44:45], v[32:33], off offset:264
	global_load_dwordx2 v[46:47], v[34:35], off offset:136
	;; [unrolled: 1-line block ×15, first 2 shown]
	v_add_co_u32 v32, vcc_lo, 0x1000, v36
	v_add_co_ci_u32_e32 v33, vcc_lo, 0, v37, vcc_lo
	s_clause 0x1
	global_load_dwordx2 v[112:113], v[34:35], off offset:2040
	global_load_dwordx2 v[114:115], v[32:33], off offset:392
	ds_read2_b64 v[32:35], v83 offset1:17
	ds_read2_b64 v[36:39], v83 offset0:34 offset1:51
	ds_read2_b64 v[40:43], v83 offset0:68 offset1:85
	s_waitcnt vmcnt(16) lgkmcnt(2)
	v_mul_f32_e32 v116, v33, v45
	v_mul_f32_e32 v117, v32, v45
	s_waitcnt vmcnt(15)
	v_mul_f32_e32 v118, v35, v47
	v_mul_f32_e32 v45, v34, v47
	s_waitcnt vmcnt(14) lgkmcnt(1)
	v_mul_f32_e32 v47, v37, v87
	v_fma_f32 v116, v32, v44, -v116
	v_fmac_f32_e32 v117, v33, v44
	v_fma_f32 v44, v34, v46, -v118
	v_fmac_f32_e32 v45, v35, v46
	ds_read2_b64 v[32:35], v83 offset0:102 offset1:119
	v_mul_f32_e32 v46, v36, v87
	s_waitcnt vmcnt(13)
	v_mul_f32_e32 v118, v39, v89
	v_mul_f32_e32 v87, v38, v89
	ds_write2_b64 v83, v[116:117], v[44:45] offset1:17
	v_fma_f32 v45, v36, v86, -v47
	v_fmac_f32_e32 v46, v37, v86
	v_fma_f32 v86, v38, v88, -v118
	v_fmac_f32_e32 v87, v39, v88
	s_waitcnt vmcnt(12) lgkmcnt(2)
	v_mul_f32_e32 v44, v41, v91
	ds_read2_b64 v[36:39], v83 offset0:136 offset1:153
	v_mul_f32_e32 v47, v40, v91
	s_waitcnt vmcnt(11)
	v_mul_f32_e32 v89, v43, v93
	v_mul_f32_e32 v88, v42, v93
	ds_write2_b64 v83, v[45:46], v[86:87] offset0:34 offset1:51
	v_fma_f32 v46, v40, v90, -v44
	v_fmac_f32_e32 v47, v41, v90
	v_fma_f32 v87, v42, v92, -v89
	v_fmac_f32_e32 v88, v43, v92
	ds_read2_b64 v[40:43], v83 offset0:170 offset1:187
	s_waitcnt vmcnt(10) lgkmcnt(4)
	v_mul_f32_e32 v44, v33, v95
	v_mul_f32_e32 v89, v32, v95
	s_waitcnt vmcnt(9)
	v_mul_f32_e32 v45, v35, v97
	v_mul_f32_e32 v91, v34, v97
	ds_write2_b64 v83, v[46:47], v[87:88] offset0:68 offset1:85
	v_fma_f32 v88, v32, v94, -v44
	v_fmac_f32_e32 v89, v33, v94
	v_fma_f32 v90, v34, v96, -v45
	v_fmac_f32_e32 v91, v35, v96
	ds_read2_b64 v[32:35], v83 offset0:204 offset1:221
	ds_read2_b64 v[44:47], v83 offset0:238 offset1:255
	s_waitcnt vmcnt(8) lgkmcnt(5)
	v_mul_f32_e32 v86, v37, v99
	v_mul_f32_e32 v87, v36, v99
	ds_write2_b64 v83, v[88:89], v[90:91] offset0:102 offset1:119
	ds_read_b64 v[90:91], v83 offset:2176
	s_waitcnt vmcnt(7)
	v_mul_f32_e32 v92, v39, v101
	v_fma_f32 v86, v36, v98, -v86
	v_fmac_f32_e32 v87, v37, v98
	v_mul_f32_e32 v37, v38, v101
	s_waitcnt vmcnt(6) lgkmcnt(5)
	v_mul_f32_e32 v89, v40, v103
	v_fma_f32 v36, v38, v100, -v92
	v_mul_f32_e32 v38, v41, v103
	s_waitcnt vmcnt(5)
	v_mul_f32_e32 v92, v43, v105
	v_fmac_f32_e32 v37, v39, v100
	v_fmac_f32_e32 v89, v41, v102
	v_mul_f32_e32 v93, v42, v105
	v_fma_f32 v88, v40, v102, -v38
	v_fma_f32 v92, v42, v104, -v92
	s_waitcnt vmcnt(4) lgkmcnt(3)
	v_mul_f32_e32 v39, v32, v107
	s_waitcnt vmcnt(3)
	v_mul_f32_e32 v40, v35, v109
	v_mul_f32_e32 v41, v34, v109
	;; [unrolled: 1-line block ×3, first 2 shown]
	s_waitcnt vmcnt(2) lgkmcnt(2)
	v_mul_f32_e32 v42, v45, v111
	v_fmac_f32_e32 v39, v33, v106
	v_fma_f32 v40, v34, v108, -v40
	v_fmac_f32_e32 v41, v35, v108
	v_mul_f32_e32 v33, v44, v111
	s_waitcnt vmcnt(1)
	v_mul_f32_e32 v34, v47, v113
	v_mul_f32_e32 v35, v46, v113
	v_fmac_f32_e32 v93, v43, v104
	v_fma_f32 v38, v32, v106, -v38
	v_fma_f32 v32, v44, v110, -v42
	s_waitcnt vmcnt(0) lgkmcnt(0)
	v_mul_f32_e32 v42, v91, v115
	v_mul_f32_e32 v43, v90, v115
	v_fmac_f32_e32 v33, v45, v110
	v_fma_f32 v34, v46, v112, -v34
	v_fmac_f32_e32 v35, v47, v112
	v_fma_f32 v42, v90, v114, -v42
	v_fmac_f32_e32 v43, v91, v114
	ds_write2_b64 v83, v[86:87], v[36:37] offset0:136 offset1:153
	ds_write2_b64 v83, v[88:89], v[92:93] offset0:170 offset1:187
	;; [unrolled: 1-line block ×4, first 2 shown]
	ds_write_b64 v83, v[42:43] offset:2176
	s_waitcnt lgkmcnt(0)
	s_barrier
	buffer_gl0_inv
	ds_read2_b64 v[44:47], v83 offset1:17
	ds_read2_b64 v[86:89], v83 offset0:34 offset1:51
	ds_read2_b64 v[98:101], v83 offset0:68 offset1:85
	;; [unrolled: 1-line block ×4, first 2 shown]
	s_waitcnt lgkmcnt(4)
	v_add_f32_e32 v32, v44, v46
	v_add_f32_e32 v33, v45, v47
	s_waitcnt lgkmcnt(3)
	v_add_f32_e32 v32, v32, v86
	v_add_f32_e32 v33, v33, v87
	;; [unrolled: 1-line block ×4, first 2 shown]
	ds_read2_b64 v[32:35], v83 offset0:136 offset1:153
	s_waitcnt lgkmcnt(3)
	v_add_f32_e32 v40, v40, v98
	v_add_f32_e32 v41, v41, v99
	v_add_f32_e32 v90, v40, v100
	v_add_f32_e32 v91, v41, v101
	ds_read2_b64 v[40:43], v83 offset0:170 offset1:187
	s_waitcnt lgkmcnt(3)
	v_add_f32_e32 v90, v90, v36
	v_add_f32_e32 v91, v91, v37
	v_add_f32_e32 v90, v90, v38
	v_add_f32_e32 v91, v91, v39
	s_waitcnt lgkmcnt(1)
	v_add_f32_e32 v90, v90, v32
	v_add_f32_e32 v91, v91, v33
	;; [unrolled: 1-line block ×4, first 2 shown]
	ds_read2_b64 v[90:93], v83 offset0:238 offset1:255
	ds_read_b64 v[106:107], v83 offset:2176
	s_waitcnt lgkmcnt(0)
	s_barrier
	v_add_f32_e32 v94, v94, v40
	v_add_f32_e32 v95, v95, v41
	buffer_gl0_inv
	v_add_f32_e32 v94, v94, v42
	v_add_f32_e32 v95, v95, v43
	;; [unrolled: 1-line block ×6, first 2 shown]
	v_sub_f32_e32 v108, v47, v107
	v_add_f32_e32 v109, v106, v46
	v_add_f32_e32 v120, v92, v86
	;; [unrolled: 1-line block ×4, first 2 shown]
	v_mul_f32_e32 v96, 0xbeb8f4ab, v108
	v_mul_f32_e32 v118, 0xbf7ee86f, v108
	;; [unrolled: 1-line block ×3, first 2 shown]
	v_add_f32_e32 v110, v94, v92
	v_mul_f32_e32 v94, 0xbf2c7751, v108
	v_add_f32_e32 v111, v95, v93
	v_mul_f32_e32 v95, 0xbf65296c, v108
	v_fmamk_f32 v112, v109, 0x3f6eb680, v96
	v_fma_f32 v113, 0x3f6eb680, v109, -v96
	v_fmamk_f32 v114, v109, 0x3f3d2fb0, v94
	v_fma_f32 v115, 0x3f3d2fb0, v109, -v94
	;; [unrolled: 2-line block ×3, first 2 shown]
	v_add_f32_e32 v121, v93, v87
	v_sub_f32_e32 v122, v86, v92
	v_sub_f32_e32 v123, v87, v93
	v_add_f32_e32 v94, v90, v88
	v_add_f32_e32 v96, v91, v89
	v_sub_f32_e32 v95, v88, v90
	v_sub_f32_e32 v97, v89, v91
	v_add_f32_e32 v90, v104, v98
	v_sub_f32_e32 v91, v98, v104
	v_add_f32_e32 v86, v102, v100
	v_sub_f32_e32 v87, v100, v102
	v_mul_f32_e32 v100, 0xbf4c4adb, v108
	v_mul_f32_e32 v102, 0xbf06c442, v108
	;; [unrolled: 1-line block ×3, first 2 shown]
	v_add_f32_e32 v47, v107, v47
	v_add_f32_e32 v92, v105, v99
	v_sub_f32_e32 v93, v99, v105
	v_add_f32_e32 v88, v103, v101
	v_sub_f32_e32 v89, v101, v103
	v_fmamk_f32 v98, v109, 0x3dbcf732, v118
	v_fma_f32 v99, 0x3dbcf732, v109, -v118
	v_fmamk_f32 v101, v109, 0xbe8c1d8e, v119
	v_fma_f32 v103, 0xbe8c1d8e, v109, -v119
	;; [unrolled: 2-line block ×3, first 2 shown]
	v_fmamk_f32 v108, v109, 0xbf59a7d5, v102
	v_sub_f32_e32 v46, v46, v106
	v_mul_f32_e32 v118, 0x3f6eb680, v47
	v_fma_f32 v102, 0xbf59a7d5, v109, -v102
	v_fmamk_f32 v119, v109, 0xbf7ba420, v104
	v_fma_f32 v104, 0xbf7ba420, v109, -v104
	v_mul_f32_e32 v109, 0x3f3d2fb0, v47
	v_mul_f32_e32 v125, 0x3ee437d1, v47
	;; [unrolled: 1-line block ×6, first 2 shown]
	v_fmamk_f32 v124, v46, 0x3eb8f4ab, v118
	v_fmamk_f32 v127, v46, 0x3f2c7751, v109
	;; [unrolled: 1-line block ×5, first 2 shown]
	v_mul_f32_e32 v47, 0xbf7ba420, v47
	v_fmamk_f32 v134, v46, 0x3f4c4adb, v131
	v_fmamk_f32 v135, v46, 0x3f06c442, v133
	v_fmac_f32_e32 v118, 0xbeb8f4ab, v46
	v_fmac_f32_e32 v109, 0xbf2c7751, v46
	;; [unrolled: 1-line block ×7, first 2 shown]
	v_fmamk_f32 v136, v46, 0x3e3c28d5, v47
	v_fmac_f32_e32 v47, 0xbe3c28d5, v46
	v_add_f32_e32 v46, v44, v112
	v_add_f32_e32 v112, v45, v124
	;; [unrolled: 1-line block ×8, first 2 shown]
	v_mul_f32_e32 v135, 0xbf2c7751, v123
	v_mul_f32_e32 v137, 0x3f3d2fb0, v121
	v_add_f32_e32 v113, v44, v113
	v_add_f32_e32 v118, v45, v118
	;; [unrolled: 1-line block ×26, first 2 shown]
	v_fmamk_f32 v106, v122, 0x3f2c7751, v137
	v_mul_f32_e32 v107, 0xbf7ee86f, v123
	v_fma_f32 v110, 0x3f3d2fb0, v120, -v135
	v_fmac_f32_e32 v137, 0xbf2c7751, v122
	v_fmamk_f32 v138, v120, 0x3f3d2fb0, v135
	v_add_f32_e32 v106, v106, v112
	v_fmamk_f32 v111, v120, 0x3dbcf732, v107
	v_mul_f32_e32 v112, 0x3dbcf732, v121
	v_add_f32_e32 v110, v110, v113
	v_add_f32_e32 v113, v137, v118
	v_mul_f32_e32 v118, 0xbf4c4adb, v123
	v_add_f32_e32 v111, v111, v114
	v_fmamk_f32 v114, v122, 0x3f7ee86f, v112
	v_fma_f32 v107, 0x3dbcf732, v120, -v107
	v_fmac_f32_e32 v112, 0xbf7ee86f, v122
	v_fmamk_f32 v135, v120, 0xbf1a4643, v118
	v_mul_f32_e32 v137, 0xbf1a4643, v121
	v_add_f32_e32 v114, v114, v124
	v_add_f32_e32 v107, v107, v115
	v_add_f32_e32 v109, v112, v109
	v_add_f32_e32 v112, v135, v116
	v_fmamk_f32 v115, v122, 0x3f4c4adb, v137
	v_mul_f32_e32 v116, 0xbe3c28d5, v123
	v_fma_f32 v118, 0xbf1a4643, v120, -v118
	v_fmac_f32_e32 v137, 0xbf4c4adb, v122
	v_mul_f32_e32 v124, 0xbf7ba420, v121
	v_add_f32_e32 v115, v115, v127
	v_fmamk_f32 v127, v120, 0xbf7ba420, v116
	v_add_f32_e32 v117, v118, v117
	v_add_f32_e32 v118, v137, v125
	v_fmamk_f32 v125, v122, 0x3e3c28d5, v124
	v_mul_f32_e32 v135, 0x3f06c442, v123
	v_add_f32_e32 v98, v127, v98
	v_fma_f32 v116, 0xbf7ba420, v120, -v116
	v_fmac_f32_e32 v124, 0xbe3c28d5, v122
	v_add_f32_e32 v125, v125, v128
	v_fmamk_f32 v127, v120, 0xbf59a7d5, v135
	v_mul_f32_e32 v128, 0xbf59a7d5, v121
	v_add_f32_e32 v99, v116, v99
	v_add_f32_e32 v116, v124, v126
	v_mul_f32_e32 v124, 0x3f763a35, v123
	v_add_f32_e32 v101, v127, v101
	v_fmamk_f32 v126, v122, 0xbf06c442, v128
	v_fma_f32 v127, 0xbf59a7d5, v120, -v135
	v_fmac_f32_e32 v128, 0x3f06c442, v122
	v_fmamk_f32 v135, v120, 0xbe8c1d8e, v124
	v_mul_f32_e32 v137, 0xbe8c1d8e, v121
	v_fma_f32 v124, 0xbe8c1d8e, v120, -v124
	v_add_f32_e32 v103, v127, v103
	v_add_f32_e32 v127, v128, v129
	v_mul_f32_e32 v129, 0x3f65296c, v123
	v_add_f32_e32 v126, v126, v130
	v_fmamk_f32 v128, v122, 0xbf763a35, v137
	v_mul_f32_e32 v130, 0x3ee437d1, v121
	v_add_f32_e32 v100, v124, v100
	v_fmamk_f32 v124, v120, 0x3ee437d1, v129
	v_fma_f32 v129, 0x3ee437d1, v120, -v129
	v_mul_f32_e32 v123, 0x3eb8f4ab, v123
	v_mul_f32_e32 v121, 0x3f6eb680, v121
	v_fmac_f32_e32 v137, 0x3f763a35, v122
	v_add_f32_e32 v128, v128, v132
	v_fmamk_f32 v132, v122, 0xbf65296c, v130
	v_add_f32_e32 v102, v129, v102
	v_fmamk_f32 v129, v120, 0x3f6eb680, v123
	v_fmac_f32_e32 v130, 0x3f65296c, v122
	v_fma_f32 v120, 0x3f6eb680, v120, -v123
	v_fmamk_f32 v123, v122, 0xbeb8f4ab, v121
	v_fmac_f32_e32 v121, 0x3eb8f4ab, v122
	v_mul_f32_e32 v122, 0xbf65296c, v97
	v_add_f32_e32 v46, v138, v46
	v_add_f32_e32 v108, v124, v108
	;; [unrolled: 1-line block ×4, first 2 shown]
	v_mul_f32_e32 v129, 0x3ee437d1, v96
	v_fmamk_f32 v132, v94, 0x3ee437d1, v122
	v_add_f32_e32 v104, v120, v104
	v_fma_f32 v122, 0x3ee437d1, v94, -v122
	v_add_f32_e32 v47, v121, v47
	v_fmamk_f32 v120, v95, 0x3f65296c, v129
	v_add_f32_e32 v46, v132, v46
	v_mul_f32_e32 v132, 0xbf1a4643, v96
	v_mul_f32_e32 v121, 0xbf4c4adb, v97
	v_fmac_f32_e32 v129, 0xbf65296c, v95
	v_add_f32_e32 v106, v120, v106
	v_add_f32_e32 v110, v122, v110
	v_fmamk_f32 v120, v95, 0x3f4c4adb, v132
	v_mul_f32_e32 v122, 0x3e3c28d5, v97
	v_add_f32_e32 v130, v130, v133
	v_fmamk_f32 v133, v94, 0xbf1a4643, v121
	v_add_f32_e32 v113, v129, v113
	v_fma_f32 v121, 0xbf1a4643, v94, -v121
	v_fmac_f32_e32 v132, 0xbf4c4adb, v95
	v_mul_f32_e32 v129, 0xbf7ba420, v96
	v_add_f32_e32 v114, v120, v114
	v_fmamk_f32 v120, v94, 0xbf7ba420, v122
	v_add_f32_e32 v107, v121, v107
	v_add_f32_e32 v109, v132, v109
	v_fmamk_f32 v121, v95, 0xbe3c28d5, v129
	v_mul_f32_e32 v132, 0x3f763a35, v97
	v_add_f32_e32 v112, v120, v112
	v_fma_f32 v120, 0xbf7ba420, v94, -v122
	v_fmac_f32_e32 v129, 0x3e3c28d5, v95
	v_mul_f32_e32 v122, 0xbe8c1d8e, v96
	v_add_f32_e32 v111, v133, v111
	v_fmamk_f32 v133, v94, 0xbe8c1d8e, v132
	v_add_f32_e32 v115, v121, v115
	v_add_f32_e32 v117, v120, v117
	;; [unrolled: 1-line block ×3, first 2 shown]
	v_fmamk_f32 v120, v95, 0xbf763a35, v122
	v_mul_f32_e32 v121, 0x3f2c7751, v97
	v_fma_f32 v129, 0xbe8c1d8e, v94, -v132
	v_fmac_f32_e32 v122, 0x3f763a35, v95
	v_mul_f32_e32 v132, 0x3f3d2fb0, v96
	v_add_f32_e32 v120, v120, v125
	v_fmamk_f32 v125, v94, 0x3f3d2fb0, v121
	v_add_f32_e32 v99, v129, v99
	v_add_f32_e32 v116, v122, v116
	v_fmamk_f32 v122, v95, 0xbf2c7751, v132
	v_mul_f32_e32 v129, 0xbeb8f4ab, v97
	v_fma_f32 v121, 0x3f3d2fb0, v94, -v121
	v_fmac_f32_e32 v132, 0x3f2c7751, v95
	v_add_f32_e32 v98, v133, v98
	v_add_f32_e32 v101, v125, v101
	v_mul_f32_e32 v125, 0x3f6eb680, v96
	v_fmamk_f32 v133, v94, 0x3f6eb680, v129
	v_add_f32_e32 v103, v121, v103
	v_add_f32_e32 v121, v132, v127
	v_fma_f32 v127, 0x3f6eb680, v94, -v129
	v_mul_f32_e32 v129, 0xbf7ee86f, v97
	v_add_f32_e32 v122, v122, v126
	v_fmamk_f32 v126, v95, 0x3eb8f4ab, v125
	v_mul_f32_e32 v132, 0x3dbcf732, v96
	v_add_f32_e32 v100, v127, v100
	v_fmamk_f32 v127, v94, 0x3dbcf732, v129
	v_mul_f32_e32 v97, 0xbf06c442, v97
	v_mul_f32_e32 v96, 0xbf59a7d5, v96
	v_add_f32_e32 v123, v123, v136
	v_fmac_f32_e32 v125, 0xbeb8f4ab, v95
	v_add_f32_e32 v126, v126, v128
	v_fmamk_f32 v128, v95, 0x3f7ee86f, v132
	v_fma_f32 v129, 0x3dbcf732, v94, -v129
	v_add_f32_e32 v108, v127, v108
	v_fmamk_f32 v127, v94, 0xbf59a7d5, v97
	v_fmac_f32_e32 v132, 0xbf7ee86f, v95
	v_fma_f32 v94, 0xbf59a7d5, v94, -v97
	v_fmamk_f32 v97, v95, 0x3f06c442, v96
	v_fmac_f32_e32 v96, 0xbf06c442, v95
	v_mul_f32_e32 v95, 0xbf7ee86f, v93
	v_add_f32_e32 v119, v127, v119
	v_add_f32_e32 v94, v94, v104
	;; [unrolled: 1-line block ×3, first 2 shown]
	v_mul_f32_e32 v123, 0x3dbcf732, v92
	v_fmamk_f32 v127, v90, 0x3dbcf732, v95
	v_add_f32_e32 v47, v96, v47
	v_mul_f32_e32 v96, 0xbe3c28d5, v93
	v_fma_f32 v95, 0x3dbcf732, v90, -v95
	v_fmamk_f32 v104, v91, 0x3f7ee86f, v123
	v_add_f32_e32 v46, v127, v46
	v_fmac_f32_e32 v123, 0xbf7ee86f, v91
	v_fmamk_f32 v127, v90, 0xbf7ba420, v96
	v_add_f32_e32 v95, v95, v110
	v_add_f32_e32 v104, v104, v106
	v_mul_f32_e32 v106, 0xbf7ba420, v92
	v_add_f32_e32 v110, v123, v113
	v_add_f32_e32 v111, v127, v111
	v_mul_f32_e32 v113, 0x3f763a35, v93
	v_fma_f32 v96, 0xbf7ba420, v90, -v96
	v_mul_f32_e32 v127, 0xbe8c1d8e, v92
	v_add_f32_e32 v102, v129, v102
	v_fmamk_f32 v123, v91, 0x3e3c28d5, v106
	v_fmac_f32_e32 v106, 0xbe3c28d5, v91
	v_fmamk_f32 v129, v90, 0xbe8c1d8e, v113
	v_add_f32_e32 v96, v96, v107
	v_fmamk_f32 v107, v91, 0xbf763a35, v127
	v_fma_f32 v113, 0xbe8c1d8e, v90, -v113
	v_add_f32_e32 v106, v106, v109
	v_add_f32_e32 v109, v129, v112
	v_mul_f32_e32 v112, 0x3eb8f4ab, v93
	v_fmac_f32_e32 v127, 0x3f763a35, v91
	v_add_f32_e32 v107, v107, v115
	v_mul_f32_e32 v115, 0x3f6eb680, v92
	v_add_f32_e32 v114, v123, v114
	v_fmamk_f32 v123, v90, 0x3f6eb680, v112
	v_add_f32_e32 v113, v113, v117
	v_add_f32_e32 v117, v127, v118
	v_mul_f32_e32 v118, 0xbf65296c, v93
	v_fmamk_f32 v127, v91, 0xbeb8f4ab, v115
	v_add_f32_e32 v98, v123, v98
	v_fma_f32 v112, 0x3f6eb680, v90, -v112
	v_fmac_f32_e32 v115, 0x3eb8f4ab, v91
	v_fmamk_f32 v123, v90, 0x3ee437d1, v118
	v_add_f32_e32 v120, v127, v120
	v_mul_f32_e32 v127, 0x3ee437d1, v92
	v_add_f32_e32 v99, v112, v99
	v_add_f32_e32 v112, v115, v116
	;; [unrolled: 1-line block ×3, first 2 shown]
	v_fma_f32 v118, 0x3ee437d1, v90, -v118
	v_fmamk_f32 v116, v91, 0x3f65296c, v127
	v_fmac_f32_e32 v127, 0xbf65296c, v91
	v_mul_f32_e32 v123, 0xbf59a7d5, v92
	v_add_f32_e32 v131, v137, v131
	v_mul_f32_e32 v115, 0xbf06c442, v93
	v_add_f32_e32 v103, v118, v103
	v_add_f32_e32 v118, v127, v121
	v_fmamk_f32 v121, v91, 0x3f06c442, v123
	v_add_f32_e32 v125, v125, v131
	v_fmamk_f32 v129, v90, 0xbf59a7d5, v115
	v_add_f32_e32 v116, v116, v122
	v_mul_f32_e32 v122, 0x3f4c4adb, v93
	v_fma_f32 v115, 0xbf59a7d5, v90, -v115
	v_fmac_f32_e32 v123, 0xbf06c442, v91
	v_add_f32_e32 v121, v121, v126
	v_mul_f32_e32 v126, 0xbf1a4643, v92
	v_mul_f32_e32 v93, 0x3f2c7751, v93
	v_add_f32_e32 v124, v128, v124
	v_add_f32_e32 v100, v115, v100
	;; [unrolled: 1-line block ×3, first 2 shown]
	v_fmamk_f32 v123, v91, 0xbf4c4adb, v126
	v_fmamk_f32 v125, v90, 0x3f3d2fb0, v93
	v_mul_f32_e32 v92, 0x3f3d2fb0, v92
	v_fmac_f32_e32 v126, 0x3f4c4adb, v91
	v_fmamk_f32 v127, v90, 0xbf1a4643, v122
	v_add_f32_e32 v123, v123, v124
	v_add_f32_e32 v119, v125, v119
	v_mul_f32_e32 v124, 0xbf763a35, v89
	v_fmamk_f32 v125, v91, 0xbf2c7751, v92
	v_fmac_f32_e32 v92, 0x3f2c7751, v91
	v_mul_f32_e32 v91, 0xbe8c1d8e, v88
	v_fma_f32 v122, 0xbf1a4643, v90, -v122
	v_fma_f32 v90, 0x3f3d2fb0, v90, -v93
	v_fmamk_f32 v93, v86, 0xbe8c1d8e, v124
	v_add_f32_e32 v47, v92, v47
	v_fmamk_f32 v92, v87, 0x3f763a35, v91
	v_fmac_f32_e32 v91, 0xbf763a35, v87
	v_add_f32_e32 v90, v90, v94
	v_add_f32_e32 v46, v93, v46
	v_mul_f32_e32 v93, 0x3f06c442, v89
	v_fma_f32 v94, 0xbe8c1d8e, v86, -v124
	v_add_f32_e32 v92, v92, v104
	v_mul_f32_e32 v104, 0xbf59a7d5, v88
	v_add_f32_e32 v91, v91, v110
	v_fmamk_f32 v124, v86, 0xbf59a7d5, v93
	v_add_f32_e32 v94, v94, v95
	v_mul_f32_e32 v95, 0x3f2c7751, v89
	v_fmamk_f32 v110, v87, 0xbf06c442, v104
	v_fma_f32 v93, 0xbf59a7d5, v86, -v93
	v_add_f32_e32 v111, v124, v111
	v_fmac_f32_e32 v104, 0x3f06c442, v87
	v_fmamk_f32 v124, v86, 0x3f3d2fb0, v95
	v_add_f32_e32 v110, v110, v114
	v_mul_f32_e32 v114, 0x3f3d2fb0, v88
	v_add_f32_e32 v93, v93, v96
	v_add_f32_e32 v96, v104, v106
	;; [unrolled: 1-line block ×3, first 2 shown]
	v_mul_f32_e32 v106, 0xbf65296c, v89
	v_fmamk_f32 v109, v87, 0xbf2c7751, v114
	v_fma_f32 v95, 0x3f3d2fb0, v86, -v95
	v_fmac_f32_e32 v114, 0x3f2c7751, v87
	v_mul_f32_e32 v124, 0x3ee437d1, v88
	v_add_f32_e32 v105, v135, v105
	v_add_f32_e32 v97, v125, v97
	v_fmamk_f32 v125, v86, 0x3ee437d1, v106
	v_add_f32_e32 v107, v109, v107
	v_add_f32_e32 v95, v95, v113
	;; [unrolled: 1-line block ×3, first 2 shown]
	v_fmamk_f32 v113, v87, 0x3f65296c, v124
	v_mul_f32_e32 v114, 0xbe3c28d5, v89
	v_fma_f32 v106, 0x3ee437d1, v86, -v106
	v_fmac_f32_e32 v124, 0xbf65296c, v87
	v_mul_f32_e32 v117, 0xbf7ba420, v88
	v_add_f32_e32 v105, v133, v105
	v_add_f32_e32 v113, v113, v120
	v_fmamk_f32 v120, v86, 0xbf7ba420, v114
	v_add_f32_e32 v99, v106, v99
	v_add_f32_e32 v106, v124, v112
	v_mul_f32_e32 v112, 0x3f7ee86f, v89
	v_fmamk_f32 v124, v87, 0x3e3c28d5, v117
	v_fma_f32 v114, 0xbf7ba420, v86, -v114
	v_fmac_f32_e32 v117, 0xbe3c28d5, v87
	v_add_f32_e32 v105, v129, v105
	v_add_f32_e32 v101, v120, v101
	v_fmamk_f32 v120, v86, 0x3dbcf732, v112
	v_add_f32_e32 v116, v124, v116
	v_mul_f32_e32 v124, 0x3dbcf732, v88
	v_add_f32_e32 v103, v114, v103
	v_add_f32_e32 v114, v117, v118
	v_mul_f32_e32 v117, 0xbeb8f4ab, v89
	v_add_f32_e32 v128, v132, v130
	v_add_f32_e32 v102, v122, v102
	;; [unrolled: 1-line block ×4, first 2 shown]
	v_fmamk_f32 v118, v87, 0xbf7ee86f, v124
	v_fma_f32 v112, 0x3dbcf732, v86, -v112
	v_fmac_f32_e32 v124, 0x3f7ee86f, v87
	v_mul_f32_e32 v120, 0x3f6eb680, v88
	v_fmamk_f32 v125, v86, 0x3f6eb680, v117
	v_mul_f32_e32 v89, 0xbf4c4adb, v89
	v_fma_f32 v117, 0x3f6eb680, v86, -v117
	v_add_f32_e32 v122, v126, v128
	v_add_f32_e32 v118, v118, v121
	;; [unrolled: 1-line block ×4, first 2 shown]
	v_fmamk_f32 v115, v87, 0x3eb8f4ab, v120
	v_fmac_f32_e32 v120, 0xbeb8f4ab, v87
	v_fmamk_f32 v121, v86, 0xbf1a4643, v89
	v_add_f32_e32 v102, v117, v102
	v_sub_f32_e32 v117, v37, v43
	v_mul_f32_e32 v88, 0xbf1a4643, v88
	v_add_f32_e32 v120, v120, v122
	v_add_f32_e32 v119, v121, v119
	;; [unrolled: 1-line block ×3, first 2 shown]
	v_mul_f32_e32 v122, 0xbf4c4adb, v117
	v_add_f32_e32 v37, v43, v37
	v_add_f32_e32 v115, v115, v123
	v_fmamk_f32 v123, v87, 0x3f4c4adb, v88
	v_fma_f32 v43, 0xbf1a4643, v86, -v89
	v_fmac_f32_e32 v88, 0xbf4c4adb, v87
	v_sub_f32_e32 v36, v36, v42
	v_fmamk_f32 v42, v121, 0xbf1a4643, v122
	v_mul_f32_e32 v86, 0xbf1a4643, v37
	v_add_f32_e32 v43, v43, v90
	v_add_f32_e32 v47, v88, v47
	v_mul_f32_e32 v88, 0x3f763a35, v117
	v_add_f32_e32 v42, v42, v46
	v_fmamk_f32 v46, v36, 0x3f4c4adb, v86
	v_fma_f32 v89, 0xbf1a4643, v121, -v122
	v_fmac_f32_e32 v86, 0xbf4c4adb, v36
	v_mul_f32_e32 v90, 0xbe8c1d8e, v37
	v_add_f32_e32 v87, v123, v97
	v_add_f32_e32 v46, v46, v92
	v_fmamk_f32 v92, v121, 0xbe8c1d8e, v88
	v_add_f32_e32 v89, v89, v94
	v_add_f32_e32 v86, v86, v91
	v_fmamk_f32 v91, v36, 0xbf763a35, v90
	v_mul_f32_e32 v94, 0xbeb8f4ab, v117
	v_fma_f32 v88, 0xbe8c1d8e, v121, -v88
	v_fmac_f32_e32 v90, 0x3f763a35, v36
	v_add_f32_e32 v92, v92, v111
	v_add_f32_e32 v91, v91, v110
	v_fmamk_f32 v97, v121, 0x3f6eb680, v94
	v_mul_f32_e32 v110, 0x3f6eb680, v37
	v_add_f32_e32 v88, v88, v93
	v_mul_f32_e32 v93, 0xbf06c442, v117
	v_add_f32_e32 v90, v90, v96
	v_add_f32_e32 v96, v97, v104
	v_fmamk_f32 v97, v36, 0x3eb8f4ab, v110
	v_mul_f32_e32 v111, 0xbf59a7d5, v37
	v_fmamk_f32 v104, v121, 0xbf59a7d5, v93
	v_fma_f32 v94, 0x3f6eb680, v121, -v94
	v_fmac_f32_e32 v110, 0xbeb8f4ab, v36
	v_add_f32_e32 v97, v97, v107
	v_mul_f32_e32 v107, 0x3f7ee86f, v117
	v_add_f32_e32 v98, v104, v98
	v_fmamk_f32 v104, v36, 0x3f06c442, v111
	v_fma_f32 v93, 0xbf59a7d5, v121, -v93
	v_fmac_f32_e32 v111, 0xbf06c442, v36
	v_add_f32_e32 v94, v94, v95
	v_add_f32_e32 v95, v110, v109
	v_mul_f32_e32 v109, 0x3dbcf732, v37
	v_fmamk_f32 v110, v121, 0x3dbcf732, v107
	v_add_f32_e32 v93, v93, v99
	v_add_f32_e32 v99, v111, v106
	v_mul_f32_e32 v111, 0xbf2c7751, v117
	v_add_f32_e32 v104, v104, v113
	v_fmamk_f32 v106, v36, 0xbf7ee86f, v109
	v_add_f32_e32 v101, v110, v101
	v_fma_f32 v107, 0x3dbcf732, v121, -v107
	v_fmac_f32_e32 v109, 0x3f7ee86f, v36
	v_fmamk_f32 v110, v121, 0x3f3d2fb0, v111
	v_mul_f32_e32 v113, 0x3f3d2fb0, v37
	v_add_f32_e32 v106, v106, v116
	v_add_f32_e32 v103, v107, v103
	;; [unrolled: 1-line block ×3, first 2 shown]
	v_mul_f32_e32 v109, 0xbe3c28d5, v117
	v_add_f32_e32 v105, v110, v105
	v_fmamk_f32 v110, v36, 0x3f2c7751, v113
	v_fma_f32 v111, 0x3f3d2fb0, v121, -v111
	v_fmac_f32_e32 v113, 0xbf2c7751, v36
	v_mul_f32_e32 v116, 0xbf7ba420, v37
	v_add_f32_e32 v108, v127, v108
	v_fmamk_f32 v114, v121, 0xbf7ba420, v109
	v_add_f32_e32 v100, v111, v100
	v_add_f32_e32 v111, v113, v112
	v_fmamk_f32 v112, v36, 0x3e3c28d5, v116
	v_mul_f32_e32 v37, 0x3ee437d1, v37
	v_fma_f32 v109, 0xbf7ba420, v121, -v109
	v_fmac_f32_e32 v116, 0xbe3c28d5, v36
	v_add_f32_e32 v108, v125, v108
	v_mul_f32_e32 v113, 0x3f65296c, v117
	v_add_f32_e32 v112, v112, v115
	v_fmamk_f32 v115, v36, 0xbf65296c, v37
	v_add_f32_e32 v102, v109, v102
	v_add_f32_e32 v109, v116, v120
	v_sub_f32_e32 v116, v39, v41
	v_add_f32_e32 v39, v41, v39
	v_add_f32_e32 v108, v114, v108
	v_fmamk_f32 v114, v121, 0x3ee437d1, v113
	v_add_f32_e32 v87, v115, v87
	v_add_f32_e32 v115, v40, v38
	v_mul_f32_e32 v41, 0xbf06c442, v116
	v_fma_f32 v113, 0x3ee437d1, v121, -v113
	v_fmac_f32_e32 v37, 0x3f65296c, v36
	v_sub_f32_e32 v36, v38, v40
	v_mul_f32_e32 v38, 0xbf59a7d5, v39
	v_fmamk_f32 v40, v115, 0xbf59a7d5, v41
	v_add_f32_e32 v43, v113, v43
	v_add_f32_e32 v37, v37, v47
	v_mul_f32_e32 v47, 0x3f65296c, v116
	v_fmamk_f32 v113, v36, 0x3f06c442, v38
	v_add_f32_e32 v40, v40, v42
	v_fma_f32 v41, 0xbf59a7d5, v115, -v41
	v_fmac_f32_e32 v38, 0xbf06c442, v36
	v_fmamk_f32 v42, v115, 0x3ee437d1, v47
	v_add_f32_e32 v46, v113, v46
	v_mul_f32_e32 v113, 0x3ee437d1, v39
	v_add_f32_e32 v41, v41, v89
	v_add_f32_e32 v38, v38, v86
	;; [unrolled: 1-line block ×3, first 2 shown]
	v_mul_f32_e32 v86, 0xbf7ee86f, v116
	v_fmamk_f32 v89, v36, 0xbf65296c, v113
	v_fma_f32 v47, 0x3ee437d1, v115, -v47
	v_fmac_f32_e32 v113, 0x3f65296c, v36
	v_mul_f32_e32 v92, 0x3dbcf732, v39
	v_fmamk_f32 v117, v115, 0x3dbcf732, v86
	v_add_f32_e32 v89, v89, v91
	v_add_f32_e32 v47, v47, v88
	v_add_f32_e32 v88, v113, v90
	v_fmamk_f32 v90, v36, 0x3f7ee86f, v92
	v_add_f32_e32 v91, v117, v96
	v_mul_f32_e32 v96, 0x3f4c4adb, v116
	v_fma_f32 v86, 0x3dbcf732, v115, -v86
	v_fmac_f32_e32 v92, 0xbf7ee86f, v36
	v_add_f32_e32 v90, v90, v97
	v_mul_f32_e32 v97, 0xbf1a4643, v39
	v_fmamk_f32 v113, v115, 0xbf1a4643, v96
	v_add_f32_e32 v86, v86, v94
	v_add_f32_e32 v92, v92, v95
	v_mul_f32_e32 v94, 0xbeb8f4ab, v116
	v_fmamk_f32 v95, v36, 0xbf4c4adb, v97
	v_add_f32_e32 v98, v113, v98
	v_fma_f32 v96, 0xbf1a4643, v115, -v96
	v_fmac_f32_e32 v97, 0x3f4c4adb, v36
	v_fmamk_f32 v113, v115, 0x3f6eb680, v94
	v_add_f32_e32 v95, v95, v104
	v_mul_f32_e32 v104, 0x3f6eb680, v39
	v_add_f32_e32 v93, v96, v93
	v_add_f32_e32 v96, v97, v99
	;; [unrolled: 1-line block ×3, first 2 shown]
	v_mul_f32_e32 v99, 0xbe3c28d5, v116
	v_fmamk_f32 v101, v36, 0x3eb8f4ab, v104
	v_fma_f32 v94, 0x3f6eb680, v115, -v94
	v_fmac_f32_e32 v104, 0xbeb8f4ab, v36
	v_mul_f32_e32 v113, 0xbf7ba420, v39
	v_add_f32_e32 v110, v110, v118
	v_fmamk_f32 v117, v115, 0xbf7ba420, v99
	v_add_f32_e32 v101, v101, v106
	v_add_f32_e32 v94, v94, v103
	;; [unrolled: 1-line block ×3, first 2 shown]
	v_fmamk_f32 v104, v36, 0x3e3c28d5, v113
	v_mul_f32_e32 v106, 0x3f2c7751, v116
	v_fma_f32 v99, 0xbf7ba420, v115, -v99
	v_fmac_f32_e32 v113, 0xbe3c28d5, v36
	v_mul_f32_e32 v107, 0x3f3d2fb0, v39
	v_add_f32_e32 v104, v104, v110
	v_fmamk_f32 v110, v115, 0x3f3d2fb0, v106
	v_add_f32_e32 v99, v99, v100
	v_add_f32_e32 v100, v113, v111
	v_mul_f32_e32 v111, 0xbf763a35, v116
	v_fmamk_f32 v113, v36, 0xbf2c7751, v107
	v_fma_f32 v106, 0x3f3d2fb0, v115, -v106
	v_fmac_f32_e32 v107, 0x3f2c7751, v36
	v_add_f32_e32 v114, v114, v119
	v_add_f32_e32 v108, v110, v108
	v_fmamk_f32 v110, v115, 0xbe8c1d8e, v111
	v_mul_f32_e32 v39, 0xbe8c1d8e, v39
	v_add_f32_e32 v102, v106, v102
	v_add_f32_e32 v106, v107, v109
	v_sub_f32_e32 v109, v33, v35
	v_add_f32_e32 v112, v113, v112
	v_add_f32_e32 v107, v110, v114
	v_fmamk_f32 v110, v36, 0x3f763a35, v39
	v_add_f32_e32 v113, v35, v33
	v_add_f32_e32 v114, v34, v32
	v_mul_f32_e32 v33, 0xbe3c28d5, v109
	v_fmac_f32_e32 v39, 0xbf763a35, v36
	v_fma_f32 v111, 0xbe8c1d8e, v115, -v111
	v_sub_f32_e32 v115, v32, v34
	v_mul_f32_e32 v35, 0xbf7ba420, v113
	v_fmamk_f32 v32, v114, 0xbf7ba420, v33
	v_add_f32_e32 v116, v39, v37
	v_mul_f32_e32 v37, 0x3eb8f4ab, v109
	v_fma_f32 v36, 0xbf7ba420, v114, -v33
	v_fmamk_f32 v34, v115, 0x3e3c28d5, v35
	v_add_f32_e32 v32, v32, v40
	v_fmac_f32_e32 v35, 0xbe3c28d5, v115
	v_fmamk_f32 v39, v114, 0x3f6eb680, v37
	v_mul_f32_e32 v40, 0x3f6eb680, v113
	v_add_f32_e32 v33, v34, v46
	v_add_f32_e32 v34, v36, v41
	;; [unrolled: 1-line block ×3, first 2 shown]
	v_mul_f32_e32 v41, 0xbf06c442, v109
	v_add_f32_e32 v36, v39, v42
	v_fmamk_f32 v38, v115, 0xbeb8f4ab, v40
	v_fma_f32 v39, 0x3f6eb680, v114, -v37
	v_add_f32_e32 v111, v111, v43
	v_fmac_f32_e32 v40, 0x3eb8f4ab, v115
	v_fmamk_f32 v42, v114, 0xbf59a7d5, v41
	v_mul_f32_e32 v43, 0xbf59a7d5, v113
	v_add_f32_e32 v37, v38, v89
	v_add_f32_e32 v38, v39, v47
	v_mul_f32_e32 v47, 0x3f2c7751, v109
	v_add_f32_e32 v110, v110, v87
	v_add_f32_e32 v39, v40, v88
	v_add_f32_e32 v40, v42, v91
	v_fmamk_f32 v42, v115, 0x3f06c442, v43
	v_fma_f32 v46, 0xbf59a7d5, v114, -v41
	v_mul_f32_e32 v87, 0x3f3d2fb0, v113
	v_fmamk_f32 v88, v114, 0x3f3d2fb0, v47
	v_mul_f32_e32 v89, 0xbf4c4adb, v109
	v_add_f32_e32 v41, v42, v90
	v_add_f32_e32 v42, v46, v86
	v_fmamk_f32 v86, v115, 0xbf2c7751, v87
	v_add_f32_e32 v46, v88, v98
	v_fma_f32 v88, 0x3f3d2fb0, v114, -v47
	v_fmac_f32_e32 v43, 0xbf06c442, v115
	v_fmac_f32_e32 v87, 0x3f2c7751, v115
	v_add_f32_e32 v47, v86, v95
	v_fmamk_f32 v90, v114, 0xbf1a4643, v89
	v_mul_f32_e32 v91, 0xbf1a4643, v113
	v_add_f32_e32 v86, v88, v93
	v_mul_f32_e32 v93, 0x3f65296c, v109
	v_add_f32_e32 v105, v117, v105
	v_add_f32_e32 v43, v43, v92
	;; [unrolled: 1-line block ×4, first 2 shown]
	v_fmamk_f32 v90, v115, 0x3f4c4adb, v91
	v_fma_f32 v92, 0xbf1a4643, v114, -v89
	v_fmamk_f32 v95, v114, 0x3ee437d1, v93
	v_mul_f32_e32 v96, 0x3ee437d1, v113
	v_fmac_f32_e32 v91, 0xbf4c4adb, v115
	v_add_f32_e32 v89, v90, v101
	v_add_f32_e32 v90, v92, v94
	;; [unrolled: 1-line block ×3, first 2 shown]
	v_fmamk_f32 v94, v115, 0xbf65296c, v96
	v_mul_f32_e32 v97, 0xbf763a35, v109
	v_fma_f32 v95, 0x3ee437d1, v114, -v93
	v_fmac_f32_e32 v96, 0x3f65296c, v115
	v_mul_f32_e32 v101, 0xbe8c1d8e, v113
	v_add_f32_e32 v91, v91, v103
	v_add_f32_e32 v93, v94, v104
	v_fmamk_f32 v98, v114, 0xbe8c1d8e, v97
	v_add_f32_e32 v94, v95, v99
	v_add_f32_e32 v95, v96, v100
	v_fma_f32 v100, 0xbe8c1d8e, v114, -v97
	v_mul_f32_e32 v103, 0x3f7ee86f, v109
	v_mul_f32_e32 v104, 0x3dbcf732, v113
	v_fmamk_f32 v99, v115, 0x3f763a35, v101
	v_add_f32_e32 v96, v98, v108
	v_add_f32_e32 v98, v100, v102
	v_fmac_f32_e32 v101, 0xbf763a35, v115
	v_fmamk_f32 v100, v114, 0x3dbcf732, v103
	v_fmamk_f32 v102, v115, 0xbf7ee86f, v104
	v_fma_f32 v103, 0x3dbcf732, v114, -v103
	v_fmac_f32_e32 v104, 0x3f7ee86f, v115
	v_add_f32_e32 v97, v99, v112
	v_add_f32_e32 v99, v101, v106
	;; [unrolled: 1-line block ×6, first 2 shown]
	ds_write2_b64 v85, v[44:45], v[32:33] offset1:1
	ds_write2_b64 v85, v[36:37], v[40:41] offset0:2 offset1:3
	ds_write2_b64 v85, v[46:47], v[88:89] offset0:4 offset1:5
	;; [unrolled: 1-line block ×7, first 2 shown]
	ds_write_b64 v85, v[34:35] offset:128
	s_waitcnt lgkmcnt(0)
	s_barrier
	buffer_gl0_inv
	ds_read2_b64 v[32:35], v83 offset1:17
	ds_read2_b64 v[36:39], v83 offset0:34 offset1:51
	ds_read2_b64 v[40:43], v83 offset0:68 offset1:85
	;; [unrolled: 1-line block ×7, first 2 shown]
	ds_read_b64 v[101:102], v83 offset:2176
	s_waitcnt lgkmcnt(8)
	v_mul_f32_e32 v103, v29, v35
	v_mul_f32_e32 v29, v29, v34
	v_fmac_f32_e32 v103, v28, v34
	s_waitcnt lgkmcnt(7)
	v_mul_f32_e32 v34, v31, v37
	v_mul_f32_e32 v31, v31, v36
	v_fma_f32 v29, v28, v35, -v29
	v_mul_f32_e32 v35, v25, v39
	v_mul_f32_e32 v25, v25, v38
	s_waitcnt lgkmcnt(6)
	v_mul_f32_e32 v28, v27, v41
	v_mul_f32_e32 v27, v27, v40
	v_fmac_f32_e32 v34, v30, v36
	v_fma_f32 v30, v30, v37, -v31
	v_fmac_f32_e32 v35, v24, v38
	v_fma_f32 v31, v24, v39, -v25
	v_fmac_f32_e32 v28, v26, v40
	s_waitcnt lgkmcnt(5)
	v_mul_f32_e32 v24, v23, v45
	v_fma_f32 v26, v26, v41, -v27
	v_mul_f32_e32 v27, v23, v44
	v_mul_f32_e32 v25, v21, v43
	;; [unrolled: 1-line block ×3, first 2 shown]
	v_fmac_f32_e32 v24, v22, v44
	v_add_f32_e32 v36, v33, v29
	v_fma_f32 v22, v22, v45, -v27
	v_add_f32_e32 v27, v32, v103
	v_fmac_f32_e32 v25, v20, v42
	v_fma_f32 v23, v20, v43, -v21
	v_mul_f32_e32 v20, v5, v47
	v_mul_f32_e32 v5, v5, v46
	v_add_f32_e32 v27, v27, v34
	v_add_f32_e32 v36, v36, v30
	s_waitcnt lgkmcnt(2)
	v_mul_f32_e32 v37, v9, v95
	v_fmac_f32_e32 v20, v4, v46
	v_fma_f32 v21, v4, v47, -v5
	v_add_f32_e32 v27, v27, v35
	v_mul_f32_e32 v4, v7, v86
	v_mul_f32_e32 v7, v7, v85
	v_add_f32_e32 v36, v36, v31
	v_mul_f32_e32 v5, v17, v88
	v_add_f32_e32 v27, v27, v28
	v_fmac_f32_e32 v4, v6, v85
	v_fma_f32 v6, v6, v86, -v7
	v_mul_f32_e32 v7, v17, v87
	v_add_f32_e32 v36, v36, v26
	v_mul_f32_e32 v17, v19, v90
	v_mul_f32_e32 v19, v19, v89
	v_add_f32_e32 v27, v27, v25
	v_fmac_f32_e32 v5, v16, v87
	v_fma_f32 v7, v16, v88, -v7
	v_add_f32_e32 v36, v36, v23
	v_fma_f32 v16, v18, v90, -v19
	v_add_f32_e32 v19, v27, v24
	v_fmac_f32_e32 v17, v18, v89
	v_mul_f32_e32 v18, v13, v92
	v_add_f32_e32 v27, v36, v22
	v_mul_f32_e32 v36, v13, v91
	v_add_f32_e32 v19, v19, v20
	v_mul_f32_e32 v13, v15, v94
	v_mul_f32_e32 v15, v15, v93
	v_add_f32_e32 v27, v27, v21
	v_fmac_f32_e32 v18, v12, v91
	v_add_f32_e32 v19, v19, v4
	v_fma_f32 v12, v12, v92, -v36
	v_fmac_f32_e32 v13, v14, v93
	v_add_f32_e32 v27, v27, v6
	v_mul_f32_e32 v36, v9, v96
	v_fma_f32 v9, v14, v94, -v15
	v_add_f32_e32 v14, v19, v5
	s_waitcnt lgkmcnt(1)
	v_mul_f32_e32 v19, v11, v98
	v_add_f32_e32 v15, v27, v7
	v_fmac_f32_e32 v36, v8, v95
	v_mul_f32_e32 v11, v11, v97
	v_add_f32_e32 v14, v14, v17
	v_fma_f32 v8, v8, v96, -v37
	v_add_f32_e32 v15, v15, v16
	v_mul_f32_e32 v27, v1, v100
	v_fmac_f32_e32 v19, v10, v97
	v_add_f32_e32 v14, v14, v18
	v_fma_f32 v10, v10, v98, -v11
	v_add_f32_e32 v15, v15, v12
	s_waitcnt lgkmcnt(0)
	v_mul_f32_e32 v11, v3, v101
	v_mul_f32_e32 v3, v3, v102
	v_add_f32_e32 v14, v14, v13
	v_mul_f32_e32 v1, v1, v99
	v_add_f32_e32 v15, v15, v9
	v_fmac_f32_e32 v27, v0, v99
	v_fma_f32 v11, v2, v102, -v11
	v_add_f32_e32 v14, v14, v36
	v_fmac_f32_e32 v3, v2, v101
	v_add_f32_e32 v15, v15, v8
	v_fma_f32 v2, v0, v100, -v1
	v_sub_f32_e32 v37, v29, v11
	v_add_f32_e32 v0, v14, v19
	v_add_f32_e32 v14, v103, v3
	;; [unrolled: 1-line block ×4, first 2 shown]
	v_mul_f32_e32 v29, 0xbeb8f4ab, v37
	v_add_f32_e32 v0, v0, v27
	v_sub_f32_e32 v38, v103, v3
	v_add_f32_e32 v1, v1, v2
	v_mul_f32_e32 v39, 0x3f6eb680, v15
	v_mul_f32_e32 v42, 0x3f3d2fb0, v15
	v_add_f32_e32 v0, v0, v3
	v_mul_f32_e32 v3, 0xbf2c7751, v37
	v_mul_f32_e32 v43, 0xbf65296c, v37
	;; [unrolled: 1-line block ×13, first 2 shown]
	v_sub_f32_e32 v102, v30, v2
	v_add_f32_e32 v2, v30, v2
	v_fmamk_f32 v40, v14, 0x3f6eb680, v29
	v_add_f32_e32 v1, v1, v11
	v_fmamk_f32 v11, v38, 0x3eb8f4ab, v39
	v_fma_f32 v29, 0x3f6eb680, v14, -v29
	v_fmac_f32_e32 v39, 0xbeb8f4ab, v38
	v_fmamk_f32 v41, v14, 0x3f3d2fb0, v3
	v_fmamk_f32 v44, v38, 0x3f2c7751, v42
	v_fma_f32 v3, 0x3f3d2fb0, v14, -v3
	v_fmac_f32_e32 v42, 0xbf2c7751, v38
	v_fmamk_f32 v46, v14, 0x3ee437d1, v43
	;; [unrolled: 4-line block ×7, first 2 shown]
	v_fmamk_f32 v103, v38, 0x3e3c28d5, v15
	v_fma_f32 v14, 0xbf7ba420, v14, -v37
	v_add_f32_e32 v30, v34, v27
	v_mul_f32_e32 v37, 0xbf2c7751, v102
	v_fmac_f32_e32 v15, 0xbe3c28d5, v38
	v_sub_f32_e32 v27, v34, v27
	v_mul_f32_e32 v34, 0x3f3d2fb0, v2
	v_add_f32_e32 v40, v32, v40
	v_add_f32_e32 v11, v33, v11
	;; [unrolled: 1-line block ×30, first 2 shown]
	v_fmamk_f32 v103, v30, 0x3f3d2fb0, v37
	v_add_f32_e32 v14, v32, v14
	v_add_f32_e32 v15, v33, v15
	v_fmamk_f32 v32, v27, 0x3f2c7751, v34
	v_mul_f32_e32 v33, 0xbf7ee86f, v102
	v_fma_f32 v37, 0x3f3d2fb0, v30, -v37
	v_add_f32_e32 v40, v103, v40
	v_fmac_f32_e32 v34, 0xbf2c7751, v27
	v_add_f32_e32 v11, v32, v11
	v_fmamk_f32 v32, v30, 0x3dbcf732, v33
	v_mul_f32_e32 v103, 0x3dbcf732, v2
	v_add_f32_e32 v29, v37, v29
	v_mul_f32_e32 v37, 0xbf4c4adb, v102
	v_add_f32_e32 v34, v34, v39
	v_add_f32_e32 v32, v32, v41
	v_fmamk_f32 v39, v27, 0x3f7ee86f, v103
	v_fma_f32 v33, 0x3dbcf732, v30, -v33
	v_fmac_f32_e32 v103, 0xbf7ee86f, v27
	v_fmamk_f32 v41, v30, 0xbf1a4643, v37
	v_mul_f32_e32 v104, 0xbf1a4643, v2
	v_add_f32_e32 v39, v39, v44
	v_add_f32_e32 v3, v33, v3
	;; [unrolled: 1-line block ×4, first 2 shown]
	v_fmamk_f32 v42, v27, 0x3f4c4adb, v104
	v_mul_f32_e32 v44, 0xbe3c28d5, v102
	v_fma_f32 v37, 0xbf1a4643, v30, -v37
	v_fmac_f32_e32 v104, 0xbf4c4adb, v27
	v_mul_f32_e32 v46, 0xbf7ba420, v2
	v_add_f32_e32 v42, v42, v47
	v_fmamk_f32 v47, v30, 0xbf7ba420, v44
	v_add_f32_e32 v37, v37, v43
	v_add_f32_e32 v43, v104, v45
	v_fmamk_f32 v45, v27, 0x3e3c28d5, v46
	v_mul_f32_e32 v103, 0x3f06c442, v102
	v_add_f32_e32 v47, v47, v87
	v_fma_f32 v44, 0xbf7ba420, v30, -v44
	v_fmac_f32_e32 v46, 0xbe3c28d5, v27
	v_add_f32_e32 v45, v45, v89
	v_fmamk_f32 v87, v30, 0xbf59a7d5, v103
	v_mul_f32_e32 v89, 0xbf59a7d5, v2
	v_add_f32_e32 v44, v44, v85
	v_add_f32_e32 v46, v46, v86
	v_mul_f32_e32 v85, 0x3f763a35, v102
	v_add_f32_e32 v86, v87, v90
	v_fmamk_f32 v87, v27, 0xbf06c442, v89
	v_fmac_f32_e32 v89, 0x3f06c442, v27
	v_mul_f32_e32 v104, 0xbe8c1d8e, v2
	v_fma_f32 v90, 0xbf59a7d5, v30, -v103
	v_fmamk_f32 v103, v30, 0xbe8c1d8e, v85
	v_add_f32_e32 v87, v87, v93
	v_add_f32_e32 v89, v89, v91
	v_fmamk_f32 v91, v27, 0xbf763a35, v104
	v_mul_f32_e32 v93, 0x3f65296c, v102
	v_add_f32_e32 v88, v90, v88
	v_add_f32_e32 v90, v103, v95
	v_fma_f32 v85, 0xbe8c1d8e, v30, -v85
	v_mul_f32_e32 v95, 0x3ee437d1, v2
	v_add_f32_e32 v91, v91, v96
	v_fmamk_f32 v96, v30, 0x3ee437d1, v93
	v_mul_f32_e32 v102, 0x3eb8f4ab, v102
	v_fma_f32 v93, 0x3ee437d1, v30, -v93
	v_add_f32_e32 v85, v85, v92
	v_fmamk_f32 v92, v27, 0xbf65296c, v95
	v_add_f32_e32 v96, v96, v99
	v_fmac_f32_e32 v95, 0x3f65296c, v27
	v_fmamk_f32 v99, v30, 0x3f6eb680, v102
	v_add_f32_e32 v93, v93, v97
	v_sub_f32_e32 v97, v31, v10
	v_add_f32_e32 v92, v92, v100
	v_mul_f32_e32 v2, 0x3f6eb680, v2
	v_add_f32_e32 v95, v95, v98
	v_add_f32_e32 v98, v99, v101
	;; [unrolled: 1-line block ×3, first 2 shown]
	v_mul_f32_e32 v101, 0xbf65296c, v97
	v_add_f32_e32 v10, v31, v10
	v_fmac_f32_e32 v104, 0x3f763a35, v27
	v_fmamk_f32 v99, v27, 0xbeb8f4ab, v2
	v_fma_f32 v30, 0x3f6eb680, v30, -v102
	v_fmac_f32_e32 v2, 0x3eb8f4ab, v27
	v_sub_f32_e32 v19, v35, v19
	v_fmamk_f32 v27, v100, 0x3ee437d1, v101
	v_mul_f32_e32 v31, 0x3ee437d1, v10
	v_add_f32_e32 v35, v99, v38
	v_add_f32_e32 v14, v30, v14
	;; [unrolled: 1-line block ×4, first 2 shown]
	v_fmamk_f32 v27, v19, 0x3f65296c, v31
	v_mul_f32_e32 v30, 0xbf4c4adb, v97
	v_fma_f32 v38, 0x3ee437d1, v100, -v101
	v_fmac_f32_e32 v31, 0xbf65296c, v19
	v_mul_f32_e32 v40, 0xbf1a4643, v10
	v_add_f32_e32 v11, v27, v11
	v_fmamk_f32 v27, v100, 0xbf1a4643, v30
	v_add_f32_e32 v29, v38, v29
	v_add_f32_e32 v31, v31, v34
	v_fmamk_f32 v34, v19, 0x3f4c4adb, v40
	v_mul_f32_e32 v38, 0x3e3c28d5, v97
	v_fma_f32 v30, 0xbf1a4643, v100, -v30
	v_fmac_f32_e32 v40, 0xbf4c4adb, v19
	v_add_f32_e32 v27, v27, v32
	v_add_f32_e32 v32, v34, v39
	v_fmamk_f32 v34, v100, 0xbf7ba420, v38
	v_mul_f32_e32 v39, 0xbf7ba420, v10
	v_add_f32_e32 v3, v30, v3
	v_add_f32_e32 v30, v40, v33
	v_mul_f32_e32 v33, 0x3f763a35, v97
	v_add_f32_e32 v34, v34, v41
	v_fmamk_f32 v40, v19, 0xbe3c28d5, v39
	v_fma_f32 v38, 0xbf7ba420, v100, -v38
	v_fmac_f32_e32 v39, 0x3e3c28d5, v19
	v_fmamk_f32 v41, v100, 0xbe8c1d8e, v33
	v_mul_f32_e32 v99, 0xbe8c1d8e, v10
	v_add_f32_e32 v40, v40, v42
	v_add_f32_e32 v37, v38, v37
	;; [unrolled: 1-line block ×4, first 2 shown]
	v_fmamk_f32 v41, v19, 0xbf763a35, v99
	v_mul_f32_e32 v42, 0x3f2c7751, v97
	v_fma_f32 v33, 0xbe8c1d8e, v100, -v33
	v_fmac_f32_e32 v99, 0x3f763a35, v19
	v_mul_f32_e32 v43, 0x3f3d2fb0, v10
	v_add_f32_e32 v41, v41, v45
	v_fmamk_f32 v45, v100, 0x3f3d2fb0, v42
	v_add_f32_e32 v33, v33, v44
	v_add_f32_e32 v44, v99, v46
	v_fmamk_f32 v46, v19, 0xbf2c7751, v43
	v_mul_f32_e32 v47, 0xbeb8f4ab, v97
	v_fma_f32 v42, 0x3f3d2fb0, v100, -v42
	v_add_f32_e32 v45, v45, v86
	v_fmac_f32_e32 v43, 0x3f2c7751, v19
	v_add_f32_e32 v46, v46, v87
	v_fmamk_f32 v86, v100, 0x3f6eb680, v47
	v_mul_f32_e32 v87, 0x3f6eb680, v10
	v_add_f32_e32 v42, v42, v88
	v_mul_f32_e32 v88, 0xbf7ee86f, v97
	v_add_f32_e32 v94, v104, v94
	v_add_f32_e32 v43, v43, v89
	;; [unrolled: 1-line block ×3, first 2 shown]
	v_fmamk_f32 v89, v19, 0x3eb8f4ab, v87
	v_fma_f32 v47, 0x3f6eb680, v100, -v47
	v_fmac_f32_e32 v87, 0xbeb8f4ab, v19
	v_fmamk_f32 v90, v100, 0x3dbcf732, v88
	v_mul_f32_e32 v99, 0x3dbcf732, v10
	v_mul_f32_e32 v10, 0xbf59a7d5, v10
	v_add_f32_e32 v47, v47, v85
	v_add_f32_e32 v85, v87, v94
	;; [unrolled: 1-line block ×3, first 2 shown]
	v_fmamk_f32 v90, v19, 0x3f7ee86f, v99
	v_fma_f32 v88, 0x3dbcf732, v100, -v88
	v_fmac_f32_e32 v99, 0xbf7ee86f, v19
	v_add_f32_e32 v89, v89, v91
	v_mul_f32_e32 v91, 0xbf06c442, v97
	v_fmamk_f32 v94, v19, 0x3f06c442, v10
	v_add_f32_e32 v88, v88, v93
	v_add_f32_e32 v93, v99, v95
	v_sub_f32_e32 v95, v26, v8
	v_add_f32_e32 v8, v26, v8
	v_add_f32_e32 v90, v90, v92
	v_fmamk_f32 v92, v100, 0xbf59a7d5, v91
	v_add_f32_e32 v35, v94, v35
	v_add_f32_e32 v94, v28, v36
	v_mul_f32_e32 v26, 0xbf7ee86f, v95
	v_fma_f32 v91, 0xbf59a7d5, v100, -v91
	v_fmac_f32_e32 v10, 0xbf06c442, v19
	v_sub_f32_e32 v19, v28, v36
	v_mul_f32_e32 v28, 0x3dbcf732, v8
	v_fmamk_f32 v36, v94, 0x3dbcf732, v26
	v_add_f32_e32 v14, v91, v14
	v_add_f32_e32 v2, v10, v2
	v_mul_f32_e32 v10, 0xbe3c28d5, v95
	v_fmamk_f32 v91, v19, 0x3f7ee86f, v28
	v_add_f32_e32 v15, v36, v15
	v_fma_f32 v26, 0x3dbcf732, v94, -v26
	v_fmac_f32_e32 v28, 0xbf7ee86f, v19
	v_fmamk_f32 v36, v94, 0xbf7ba420, v10
	v_add_f32_e32 v11, v91, v11
	v_mul_f32_e32 v91, 0xbf7ba420, v8
	v_add_f32_e32 v26, v26, v29
	v_add_f32_e32 v28, v28, v31
	;; [unrolled: 1-line block ×3, first 2 shown]
	v_mul_f32_e32 v29, 0x3f763a35, v95
	v_fmamk_f32 v31, v19, 0x3e3c28d5, v91
	v_fma_f32 v10, 0xbf7ba420, v94, -v10
	v_fmac_f32_e32 v91, 0xbe3c28d5, v19
	v_mul_f32_e32 v36, 0xbe8c1d8e, v8
	v_fmamk_f32 v96, v94, 0xbe8c1d8e, v29
	v_add_f32_e32 v31, v31, v32
	v_add_f32_e32 v3, v10, v3
	;; [unrolled: 1-line block ×3, first 2 shown]
	v_fmamk_f32 v30, v19, 0xbf763a35, v36
	v_add_f32_e32 v32, v96, v34
	v_mul_f32_e32 v34, 0x3eb8f4ab, v95
	v_fma_f32 v29, 0xbe8c1d8e, v94, -v29
	v_fmac_f32_e32 v36, 0x3f763a35, v19
	v_add_f32_e32 v30, v30, v40
	v_mul_f32_e32 v40, 0x3f6eb680, v8
	v_fmamk_f32 v91, v94, 0x3f6eb680, v34
	v_add_f32_e32 v29, v29, v37
	v_add_f32_e32 v36, v36, v38
	v_mul_f32_e32 v37, 0xbf65296c, v95
	v_fmamk_f32 v38, v19, 0xbeb8f4ab, v40
	v_add_f32_e32 v39, v91, v39
	v_fma_f32 v34, 0x3f6eb680, v94, -v34
	v_fmac_f32_e32 v40, 0x3eb8f4ab, v19
	v_fmamk_f32 v91, v94, 0x3ee437d1, v37
	v_add_f32_e32 v38, v38, v41
	v_mul_f32_e32 v41, 0x3ee437d1, v8
	v_add_f32_e32 v33, v34, v33
	v_add_f32_e32 v34, v40, v44
	;; [unrolled: 1-line block ×3, first 2 shown]
	v_mul_f32_e32 v44, 0xbf06c442, v95
	v_fmamk_f32 v45, v19, 0x3f65296c, v41
	v_fma_f32 v37, 0x3ee437d1, v94, -v37
	v_mul_f32_e32 v91, 0xbf59a7d5, v8
	v_fmac_f32_e32 v41, 0xbf65296c, v19
	v_fmamk_f32 v96, v94, 0xbf59a7d5, v44
	v_add_f32_e32 v45, v45, v46
	v_add_f32_e32 v37, v37, v42
	v_fmamk_f32 v42, v19, 0x3f06c442, v91
	v_mul_f32_e32 v46, 0x3f4c4adb, v95
	v_fma_f32 v44, 0xbf59a7d5, v94, -v44
	v_fmac_f32_e32 v91, 0xbf06c442, v19
	v_add_f32_e32 v92, v92, v98
	v_add_f32_e32 v42, v42, v89
	v_fmamk_f32 v89, v94, 0xbf1a4643, v46
	v_add_f32_e32 v44, v44, v47
	v_add_f32_e32 v47, v91, v85
	v_mul_f32_e32 v85, 0x3f2c7751, v95
	v_add_f32_e32 v41, v41, v43
	v_add_f32_e32 v43, v96, v86
	v_mul_f32_e32 v86, 0xbf1a4643, v8
	v_add_f32_e32 v87, v89, v87
	v_fma_f32 v46, 0xbf1a4643, v94, -v46
	v_fmamk_f32 v89, v94, 0x3f3d2fb0, v85
	v_mul_f32_e32 v8, 0x3f3d2fb0, v8
	v_fmamk_f32 v91, v19, 0xbf4c4adb, v86
	v_fmac_f32_e32 v86, 0x3f4c4adb, v19
	v_add_f32_e32 v46, v46, v88
	v_add_f32_e32 v88, v89, v92
	v_sub_f32_e32 v89, v23, v9
	v_add_f32_e32 v9, v23, v9
	v_add_f32_e32 v90, v91, v90
	v_fmamk_f32 v91, v19, 0xbf2c7751, v8
	v_fma_f32 v85, 0x3f3d2fb0, v94, -v85
	v_add_f32_e32 v23, v25, v13
	v_mul_f32_e32 v92, 0xbf763a35, v89
	v_fmac_f32_e32 v8, 0x3f2c7751, v19
	v_sub_f32_e32 v13, v25, v13
	v_mul_f32_e32 v19, 0xbe8c1d8e, v9
	v_add_f32_e32 v25, v91, v35
	v_fmamk_f32 v35, v23, 0xbe8c1d8e, v92
	v_add_f32_e32 v14, v85, v14
	v_add_f32_e32 v2, v8, v2
	v_fmamk_f32 v8, v13, 0x3f763a35, v19
	v_mul_f32_e32 v85, 0x3f06c442, v89
	v_fmac_f32_e32 v19, 0xbf763a35, v13
	v_add_f32_e32 v15, v35, v15
	v_fma_f32 v35, 0xbe8c1d8e, v23, -v92
	v_add_f32_e32 v8, v8, v11
	v_fmamk_f32 v11, v23, 0xbf59a7d5, v85
	v_mul_f32_e32 v91, 0xbf59a7d5, v9
	v_add_f32_e32 v19, v19, v28
	v_mul_f32_e32 v28, 0x3f2c7751, v89
	v_add_f32_e32 v26, v35, v26
	v_add_f32_e32 v11, v11, v27
	v_fmamk_f32 v27, v13, 0xbf06c442, v91
	v_fma_f32 v35, 0xbf59a7d5, v23, -v85
	v_fmamk_f32 v85, v23, 0x3f3d2fb0, v28
	v_mul_f32_e32 v92, 0x3f3d2fb0, v9
	v_fmac_f32_e32 v91, 0x3f06c442, v13
	v_add_f32_e32 v27, v27, v31
	v_add_f32_e32 v3, v35, v3
	;; [unrolled: 1-line block ×3, first 2 shown]
	v_fmamk_f32 v32, v13, 0xbf2c7751, v92
	v_mul_f32_e32 v35, 0xbf65296c, v89
	v_fma_f32 v28, 0x3f3d2fb0, v23, -v28
	v_fmac_f32_e32 v92, 0x3f2c7751, v13
	v_mul_f32_e32 v85, 0x3ee437d1, v9
	v_add_f32_e32 v10, v91, v10
	v_add_f32_e32 v30, v32, v30
	v_fmamk_f32 v32, v23, 0x3ee437d1, v35
	v_add_f32_e32 v28, v28, v29
	v_add_f32_e32 v29, v92, v36
	v_fmamk_f32 v36, v13, 0x3f65296c, v85
	v_mul_f32_e32 v91, 0xbe3c28d5, v89
	v_fma_f32 v35, 0x3ee437d1, v23, -v35
	v_add_f32_e32 v32, v32, v39
	v_fmac_f32_e32 v85, 0xbf65296c, v13
	v_add_f32_e32 v36, v36, v38
	v_fmamk_f32 v38, v23, 0xbf7ba420, v91
	v_mul_f32_e32 v39, 0xbf7ba420, v9
	v_add_f32_e32 v33, v35, v33
	v_mul_f32_e32 v35, 0x3f7ee86f, v89
	v_add_f32_e32 v34, v85, v34
	v_add_f32_e32 v38, v38, v40
	v_fmamk_f32 v40, v13, 0x3e3c28d5, v39
	v_fma_f32 v85, 0xbf7ba420, v23, -v91
	v_fmac_f32_e32 v39, 0xbe3c28d5, v13
	v_fmamk_f32 v91, v23, 0x3dbcf732, v35
	v_mul_f32_e32 v92, 0x3dbcf732, v9
	v_add_f32_e32 v40, v40, v45
	v_mul_f32_e32 v45, 0xbeb8f4ab, v89
	v_add_f32_e32 v39, v39, v41
	v_add_f32_e32 v41, v91, v43
	v_fmamk_f32 v43, v13, 0xbf7ee86f, v92
	v_add_f32_e32 v37, v85, v37
	v_fma_f32 v35, 0x3dbcf732, v23, -v35
	v_mul_f32_e32 v85, 0x3f6eb680, v9
	v_mul_f32_e32 v89, 0xbf4c4adb, v89
	v_add_f32_e32 v42, v43, v42
	v_fmamk_f32 v43, v23, 0x3f6eb680, v45
	v_fma_f32 v45, 0x3f6eb680, v23, -v45
	v_add_f32_e32 v86, v86, v93
	v_add_f32_e32 v35, v35, v44
	v_fmamk_f32 v44, v13, 0x3eb8f4ab, v85
	v_add_f32_e32 v43, v43, v87
	v_fmac_f32_e32 v85, 0xbeb8f4ab, v13
	v_fmamk_f32 v87, v23, 0xbf1a4643, v89
	v_add_f32_e32 v45, v45, v46
	v_sub_f32_e32 v46, v22, v12
	v_add_f32_e32 v44, v44, v90
	v_mul_f32_e32 v9, 0xbf1a4643, v9
	v_add_f32_e32 v85, v85, v86
	v_add_f32_e32 v86, v87, v88
	;; [unrolled: 1-line block ×3, first 2 shown]
	v_mul_f32_e32 v90, 0xbf4c4adb, v46
	v_add_f32_e32 v12, v22, v12
	v_fmac_f32_e32 v92, 0x3f7ee86f, v13
	v_fmamk_f32 v87, v13, 0x3f4c4adb, v9
	v_fma_f32 v22, 0xbf1a4643, v23, -v89
	v_fmac_f32_e32 v9, 0xbf4c4adb, v13
	v_sub_f32_e32 v13, v24, v18
	v_fmamk_f32 v18, v88, 0xbf1a4643, v90
	v_mul_f32_e32 v23, 0xbf1a4643, v12
	v_add_f32_e32 v24, v87, v25
	v_add_f32_e32 v2, v9, v2
	;; [unrolled: 1-line block ×4, first 2 shown]
	v_fmamk_f32 v15, v13, 0x3f4c4adb, v23
	v_mul_f32_e32 v18, 0x3f763a35, v46
	v_fma_f32 v22, 0xbf1a4643, v88, -v90
	v_fmac_f32_e32 v23, 0xbf4c4adb, v13
	v_mul_f32_e32 v25, 0xbe8c1d8e, v12
	v_add_f32_e32 v8, v15, v8
	v_fmamk_f32 v15, v88, 0xbe8c1d8e, v18
	v_add_f32_e32 v22, v22, v26
	v_add_f32_e32 v19, v23, v19
	v_fmamk_f32 v23, v13, 0xbf763a35, v25
	v_mul_f32_e32 v26, 0xbeb8f4ab, v46
	v_add_f32_e32 v11, v15, v11
	v_fma_f32 v15, 0xbe8c1d8e, v88, -v18
	v_fmac_f32_e32 v25, 0x3f763a35, v13
	v_add_f32_e32 v18, v23, v27
	v_fmamk_f32 v23, v88, 0x3f6eb680, v26
	v_mul_f32_e32 v27, 0x3f6eb680, v12
	v_add_f32_e32 v3, v15, v3
	v_mul_f32_e32 v15, 0xbf06c442, v46
	v_add_f32_e32 v10, v25, v10
	v_add_f32_e32 v23, v23, v31
	v_fmamk_f32 v25, v13, 0x3eb8f4ab, v27
	v_fma_f32 v26, 0x3f6eb680, v88, -v26
	v_fmac_f32_e32 v27, 0xbeb8f4ab, v13
	v_fmamk_f32 v31, v88, 0xbf59a7d5, v15
	v_mul_f32_e32 v87, 0xbf59a7d5, v12
	v_add_f32_e32 v25, v25, v30
	v_add_f32_e32 v26, v26, v28
	;; [unrolled: 1-line block ×4, first 2 shown]
	v_fmamk_f32 v29, v13, 0x3f06c442, v87
	v_mul_f32_e32 v30, 0x3f7ee86f, v46
	v_fma_f32 v15, 0xbf59a7d5, v88, -v15
	v_fmac_f32_e32 v87, 0xbf06c442, v13
	v_mul_f32_e32 v31, 0x3dbcf732, v12
	v_add_f32_e32 v29, v29, v36
	v_fmamk_f32 v32, v88, 0x3dbcf732, v30
	v_add_f32_e32 v15, v15, v33
	v_add_f32_e32 v33, v87, v34
	v_fmamk_f32 v34, v13, 0xbf7ee86f, v31
	v_mul_f32_e32 v36, 0xbf2c7751, v46
	v_fma_f32 v30, 0x3dbcf732, v88, -v30
	v_add_f32_e32 v32, v32, v38
	v_fmac_f32_e32 v31, 0x3f7ee86f, v13
	v_add_f32_e32 v34, v34, v40
	v_fmamk_f32 v38, v88, 0x3f3d2fb0, v36
	v_mul_f32_e32 v40, 0x3f3d2fb0, v12
	v_add_f32_e32 v30, v30, v37
	v_mul_f32_e32 v37, 0xbe3c28d5, v46
	v_add_f32_e32 v47, v92, v47
	v_add_f32_e32 v31, v31, v39
	;; [unrolled: 1-line block ×3, first 2 shown]
	v_fmamk_f32 v39, v13, 0x3f2c7751, v40
	v_fma_f32 v36, 0x3f3d2fb0, v88, -v36
	v_fmac_f32_e32 v40, 0xbf2c7751, v13
	v_fmamk_f32 v41, v88, 0xbf7ba420, v37
	v_mul_f32_e32 v87, 0xbf7ba420, v12
	v_mul_f32_e32 v12, 0x3ee437d1, v12
	v_add_f32_e32 v35, v36, v35
	v_add_f32_e32 v36, v40, v47
	;; [unrolled: 1-line block ×3, first 2 shown]
	v_fmamk_f32 v41, v13, 0x3e3c28d5, v87
	v_add_f32_e32 v39, v39, v42
	v_mul_f32_e32 v42, 0x3f65296c, v46
	v_sub_f32_e32 v46, v21, v16
	v_add_f32_e32 v16, v21, v16
	v_add_f32_e32 v41, v41, v44
	v_fmamk_f32 v44, v13, 0xbf65296c, v12
	v_fmac_f32_e32 v87, 0xbe3c28d5, v13
	v_mul_f32_e32 v21, 0xbf06c442, v46
	v_fmamk_f32 v43, v88, 0x3ee437d1, v42
	v_fma_f32 v42, 0x3ee437d1, v88, -v42
	v_add_f32_e32 v24, v44, v24
	v_add_f32_e32 v44, v20, v17
	v_fmac_f32_e32 v12, 0x3f65296c, v13
	v_sub_f32_e32 v13, v20, v17
	v_mul_f32_e32 v17, 0xbf59a7d5, v16
	v_add_f32_e32 v14, v42, v14
	v_fmamk_f32 v20, v44, 0xbf59a7d5, v21
	v_add_f32_e32 v2, v12, v2
	v_mul_f32_e32 v12, 0x3f65296c, v46
	v_fmamk_f32 v42, v13, 0x3f06c442, v17
	v_fmac_f32_e32 v17, 0xbf06c442, v13
	v_add_f32_e32 v9, v20, v9
	v_fma_f32 v20, 0xbf59a7d5, v44, -v21
	v_fmamk_f32 v21, v44, 0x3ee437d1, v12
	v_add_f32_e32 v8, v42, v8
	v_mul_f32_e32 v42, 0x3ee437d1, v16
	v_add_f32_e32 v17, v17, v19
	v_add_f32_e32 v20, v20, v22
	v_mul_f32_e32 v19, 0xbf7ee86f, v46
	v_fma_f32 v12, 0x3ee437d1, v44, -v12
	v_mul_f32_e32 v22, 0x3dbcf732, v16
	v_add_f32_e32 v11, v21, v11
	v_fmamk_f32 v21, v13, 0xbf65296c, v42
	v_fmamk_f32 v47, v44, 0x3dbcf732, v19
	v_add_f32_e32 v12, v12, v3
	v_fmamk_f32 v3, v13, 0x3f7ee86f, v22
	v_fmac_f32_e32 v42, 0x3f65296c, v13
	v_add_f32_e32 v18, v21, v18
	v_add_f32_e32 v21, v47, v23
	v_mul_f32_e32 v23, 0x3f4c4adb, v46
	v_fma_f32 v19, 0x3dbcf732, v44, -v19
	v_fmac_f32_e32 v22, 0xbf7ee86f, v13
	v_add_f32_e32 v25, v3, v25
	v_mul_f32_e32 v3, 0xbf1a4643, v16
	v_add_f32_e32 v10, v42, v10
	v_fmamk_f32 v42, v44, 0xbf1a4643, v23
	v_add_f32_e32 v19, v19, v26
	v_add_f32_e32 v22, v22, v27
	v_mul_f32_e32 v26, 0xbeb8f4ab, v46
	v_fmamk_f32 v27, v13, 0xbf4c4adb, v3
	v_add_f32_e32 v28, v42, v28
	v_fma_f32 v23, 0xbf1a4643, v44, -v23
	v_fmac_f32_e32 v3, 0x3f4c4adb, v13
	v_fmamk_f32 v42, v44, 0x3f6eb680, v26
	v_add_f32_e32 v27, v27, v29
	v_mul_f32_e32 v29, 0x3f6eb680, v16
	v_add_f32_e32 v23, v23, v15
	v_add_f32_e32 v33, v3, v33
	;; [unrolled: 1-line block ×3, first 2 shown]
	v_mul_f32_e32 v3, 0xbe3c28d5, v46
	v_fmamk_f32 v15, v13, 0x3eb8f4ab, v29
	v_mul_f32_e32 v42, 0xbf7ba420, v16
	v_fma_f32 v26, 0x3f6eb680, v44, -v26
	v_fmac_f32_e32 v29, 0xbeb8f4ab, v13
	v_fmamk_f32 v47, v44, 0xbf7ba420, v3
	v_add_f32_e32 v34, v15, v34
	v_fmamk_f32 v15, v13, 0x3e3c28d5, v42
	v_add_f32_e32 v26, v26, v30
	v_add_f32_e32 v29, v29, v31
	v_add_f32_e32 v30, v47, v38
	v_mul_f32_e32 v31, 0x3f2c7751, v46
	v_fma_f32 v3, 0xbf7ba420, v44, -v3
	v_fmac_f32_e32 v42, 0xbe3c28d5, v13
	v_add_f32_e32 v38, v15, v39
	v_mul_f32_e32 v15, 0x3f3d2fb0, v16
	v_fmamk_f32 v39, v44, 0x3f3d2fb0, v31
	v_add_f32_e32 v35, v3, v35
	v_add_f32_e32 v36, v42, v36
	v_mul_f32_e32 v3, 0xbf763a35, v46
	v_fmamk_f32 v42, v13, 0xbf2c7751, v15
	v_fma_f32 v37, 0xbf7ba420, v88, -v37
	v_add_f32_e32 v43, v43, v86
	v_add_f32_e32 v39, v39, v40
	v_fmamk_f32 v40, v44, 0xbe8c1d8e, v3
	v_add_f32_e32 v41, v42, v41
	v_sub_f32_e32 v42, v6, v7
	v_add_f32_e32 v37, v37, v45
	v_add_f32_e32 v45, v87, v85
	v_fma_f32 v31, 0x3f3d2fb0, v44, -v31
	v_fmac_f32_e32 v15, 0x3f2c7751, v13
	v_mul_f32_e32 v16, 0xbe8c1d8e, v16
	v_add_f32_e32 v40, v40, v43
	v_fma_f32 v3, 0xbe8c1d8e, v44, -v3
	v_add_f32_e32 v43, v6, v7
	v_add_f32_e32 v44, v4, v5
	v_mul_f32_e32 v6, 0xbe3c28d5, v42
	v_add_f32_e32 v31, v31, v37
	v_add_f32_e32 v37, v15, v45
	v_fmamk_f32 v15, v13, 0x3f763a35, v16
	v_fmac_f32_e32 v16, 0xbf763a35, v13
	v_sub_f32_e32 v45, v4, v5
	v_mul_f32_e32 v5, 0xbf7ba420, v43
	v_fmamk_f32 v4, v44, 0xbf7ba420, v6
	v_mul_f32_e32 v7, 0x3eb8f4ab, v42
	v_add_f32_e32 v47, v3, v14
	v_add_f32_e32 v85, v16, v2
	v_fmamk_f32 v3, v45, 0x3e3c28d5, v5
	v_add_f32_e32 v2, v4, v9
	v_fma_f32 v4, 0xbf7ba420, v44, -v6
	v_fmamk_f32 v6, v44, 0x3f6eb680, v7
	v_mul_f32_e32 v9, 0x3f6eb680, v43
	v_mul_f32_e32 v13, 0xbf06c442, v42
	v_add_f32_e32 v3, v3, v8
	v_mul_f32_e32 v16, 0x3f2c7751, v42
	v_add_f32_e32 v6, v6, v11
	v_fmamk_f32 v8, v45, 0xbeb8f4ab, v9
	v_fma_f32 v11, 0x3f6eb680, v44, -v7
	v_fmac_f32_e32 v9, 0x3eb8f4ab, v45
	v_fmamk_f32 v14, v44, 0xbf59a7d5, v13
	v_add_f32_e32 v46, v15, v24
	v_mul_f32_e32 v15, 0xbf59a7d5, v43
	v_add_f32_e32 v7, v8, v18
	v_add_f32_e32 v8, v11, v12
	v_fma_f32 v12, 0xbf59a7d5, v44, -v13
	v_fmac_f32_e32 v5, 0xbe3c28d5, v45
	v_add_f32_e32 v9, v9, v10
	v_add_f32_e32 v10, v14, v21
	v_fmamk_f32 v14, v44, 0x3f3d2fb0, v16
	v_fma_f32 v16, 0x3f3d2fb0, v44, -v16
	v_fmamk_f32 v11, v45, 0x3f06c442, v15
	v_fmac_f32_e32 v15, 0xbf06c442, v45
	v_add_f32_e32 v12, v12, v19
	v_mul_f32_e32 v19, 0xbf4c4adb, v42
	v_mul_f32_e32 v21, 0xbf1a4643, v43
	v_add_f32_e32 v5, v5, v17
	v_mul_f32_e32 v17, 0x3f3d2fb0, v43
	v_add_f32_e32 v16, v16, v23
	;; [unrolled: 2-line block ×3, first 2 shown]
	v_add_f32_e32 v13, v15, v22
	v_fmamk_f32 v20, v45, 0x3f4c4adb, v21
	v_fma_f32 v22, 0xbf1a4643, v44, -v19
	v_add_f32_e32 v11, v11, v25
	v_fmamk_f32 v15, v45, 0xbf2c7751, v17
	v_fmac_f32_e32 v21, 0xbf4c4adb, v45
	v_fmamk_f32 v24, v44, 0x3ee437d1, v23
	v_mul_f32_e32 v25, 0x3ee437d1, v43
	v_fmac_f32_e32 v17, 0x3f2c7751, v45
	v_fmamk_f32 v18, v44, 0xbf1a4643, v19
	v_add_f32_e32 v19, v20, v34
	v_add_f32_e32 v20, v22, v26
	v_mul_f32_e32 v26, 0xbf763a35, v42
	v_add_f32_e32 v15, v15, v27
	v_add_f32_e32 v21, v21, v29
	;; [unrolled: 1-line block ×3, first 2 shown]
	v_fmamk_f32 v24, v45, 0xbf65296c, v25
	v_fma_f32 v27, 0x3ee437d1, v44, -v23
	v_mul_f32_e32 v29, 0xbe8c1d8e, v43
	v_add_f32_e32 v14, v14, v28
	v_add_f32_e32 v17, v17, v33
	;; [unrolled: 1-line block ×3, first 2 shown]
	v_fmamk_f32 v28, v44, 0xbe8c1d8e, v26
	v_fma_f32 v30, 0xbe8c1d8e, v44, -v26
	v_mul_f32_e32 v32, 0x3f7ee86f, v42
	v_mul_f32_e32 v33, 0x3dbcf732, v43
	v_add_f32_e32 v23, v24, v38
	v_add_f32_e32 v24, v27, v35
	v_fmamk_f32 v27, v45, 0x3f763a35, v29
	v_add_f32_e32 v26, v28, v39
	v_add_f32_e32 v28, v30, v31
	v_fmamk_f32 v30, v44, 0x3dbcf732, v32
	v_fmamk_f32 v31, v45, 0xbf7ee86f, v33
	v_fma_f32 v32, 0x3dbcf732, v44, -v32
	v_fmac_f32_e32 v33, 0x3f7ee86f, v45
	v_fmac_f32_e32 v25, 0x3f65296c, v45
	;; [unrolled: 1-line block ×3, first 2 shown]
	v_add_f32_e32 v27, v27, v41
	v_add_f32_e32 v30, v30, v40
	;; [unrolled: 1-line block ×7, first 2 shown]
	ds_write2_b64 v83, v[0:1], v[2:3] offset1:17
	ds_write2_b64 v83, v[6:7], v[10:11] offset0:34 offset1:51
	ds_write2_b64 v83, v[14:15], v[18:19] offset0:68 offset1:85
	;; [unrolled: 1-line block ×7, first 2 shown]
	ds_write_b64 v83, v[4:5] offset:2176
	s_waitcnt lgkmcnt(0)
	s_barrier
	buffer_gl0_inv
	ds_read2_b64 v[0:3], v83 offset1:17
	v_mad_u64_u32 v[8:9], null, s2, v60, 0
	v_mad_u64_u32 v[14:15], null, s0, v84, 0
	s_waitcnt lgkmcnt(0)
	v_mul_f32_e32 v4, v82, v1
	v_mul_f32_e32 v5, v82, v0
	;; [unrolled: 1-line block ×3, first 2 shown]
	v_fmac_f32_e32 v4, v81, v0
	v_fma_f32 v5, v81, v1, -v5
	v_fmac_f32_e32 v6, v79, v2
	v_cvt_f64_f32_e32 v[0:1], v4
	v_cvt_f64_f32_e32 v[4:5], v5
	;; [unrolled: 1-line block ×3, first 2 shown]
	v_mul_f64 v[10:11], v[0:1], s[6:7]
	v_mul_f32_e32 v0, v80, v2
	v_mul_f64 v[12:13], v[4:5], s[6:7]
	v_mov_b32_e32 v4, v9
	v_fma_f32 v5, v79, v3, -v0
	ds_read2_b64 v[0:3], v83 offset0:34 offset1:51
	v_cvt_f64_f32_e32 v[18:19], v5
	v_mov_b32_e32 v5, v15
	v_mad_u64_u32 v[20:21], null, s3, v60, v[4:5]
	v_mad_u64_u32 v[21:22], null, s1, v84, v[5:6]
	ds_read2_b64 v[4:7], v83 offset0:68 offset1:85
	s_load_dwordx2 s[2:3], s[4:5], 0x38
	v_cvt_f32_f64_e32 v10, v[10:11]
	v_cvt_f32_f64_e32 v11, v[12:13]
	v_mov_b32_e32 v9, v20
	s_mulk_i32 s1, 0x88
	s_waitcnt lgkmcnt(0)
	v_mul_f32_e32 v20, v76, v1
	v_mov_b32_e32 v15, v21
	v_mul_f32_e32 v22, v74, v3
	v_mul_f32_e32 v21, v74, v2
	v_lshlrev_b64 v[8:9], 3, v[8:9]
	v_fmac_f32_e32 v20, v75, v0
	v_mul_f32_e32 v0, v76, v0
	v_fmac_f32_e32 v22, v73, v2
	v_lshlrev_b64 v[12:13], 3, v[14:15]
	v_mul_f64 v[14:15], v[16:17], s[6:7]
	v_mul_f64 v[16:17], v[18:19], s[6:7]
	v_fma_f32 v0, v75, v1, -v0
	v_fma_f32 v1, v73, v3, -v21
	v_cvt_f64_f32_e32 v[18:19], v20
	v_mul_f32_e32 v26, v78, v5
	v_mul_f32_e32 v2, v78, v4
	v_cvt_f64_f32_e32 v[20:21], v0
	v_cvt_f64_f32_e32 v[24:25], v1
	;; [unrolled: 1-line block ×3, first 2 shown]
	v_fmac_f32_e32 v26, v77, v4
	v_fma_f32 v0, v77, v5, -v2
	v_add_co_u32 v8, vcc_lo, s2, v8
	v_add_co_ci_u32_e32 v9, vcc_lo, s3, v9, vcc_lo
	v_cvt_f64_f32_e32 v[26:27], v26
	v_cvt_f64_f32_e32 v[4:5], v0
	ds_read2_b64 v[0:3], v83 offset0:102 offset1:119
	v_add_co_u32 v8, vcc_lo, v8, v12
	v_add_co_ci_u32_e32 v9, vcc_lo, v9, v13, vcc_lo
	s_mul_hi_u32 s2, s0, 0x88
	s_mulk_i32 s0, 0x88
	s_add_i32 s1, s2, s1
	v_mul_f64 v[12:13], v[18:19], s[6:7]
	global_store_dwordx2 v[8:9], v[10:11], off
	v_cvt_f32_f64_e32 v10, v[14:15]
	v_cvt_f32_f64_e32 v11, v[16:17]
	v_mul_f64 v[18:19], v[24:25], s[6:7]
	v_mul_f32_e32 v24, v72, v7
	v_mul_f32_e32 v25, v72, v6
	v_mul_f64 v[14:15], v[20:21], s[6:7]
	v_mul_f64 v[16:17], v[22:23], s[6:7]
	v_add_co_u32 v8, vcc_lo, v8, s0
	v_fmac_f32_e32 v24, v71, v6
	v_mul_f64 v[20:21], v[26:27], s[6:7]
	s_waitcnt lgkmcnt(0)
	v_mul_f32_e32 v26, v70, v1
	v_mul_f64 v[22:23], v[4:5], s[6:7]
	v_mul_f32_e32 v4, v70, v0
	v_fma_f32 v5, v71, v7, -v25
	v_mul_f32_e32 v30, v66, v3
	v_fmac_f32_e32 v26, v69, v0
	v_mul_f32_e32 v31, v66, v2
	v_fma_f32 v4, v69, v1, -v4
	v_cvt_f64_f32_e32 v[0:1], v24
	v_cvt_f64_f32_e32 v[24:25], v5
	;; [unrolled: 1-line block ×3, first 2 shown]
	v_cvt_f32_f64_e32 v12, v[12:13]
	v_cvt_f64_f32_e32 v[28:29], v4
	ds_read2_b64 v[4:7], v83 offset0:136 offset1:153
	v_fmac_f32_e32 v30, v65, v2
	v_add_co_ci_u32_e32 v9, vcc_lo, s1, v9, vcc_lo
	v_cvt_f32_f64_e32 v16, v[16:17]
	v_cvt_f32_f64_e32 v17, v[18:19]
	;; [unrolled: 1-line block ×3, first 2 shown]
	v_add_co_u32 v14, vcc_lo, v8, s0
	v_cvt_f32_f64_e32 v18, v[20:21]
	v_cvt_f32_f64_e32 v19, v[22:23]
	v_add_co_ci_u32_e32 v15, vcc_lo, s1, v9, vcc_lo
	v_mul_f64 v[20:21], v[0:1], s[6:7]
	v_mul_f64 v[22:23], v[24:25], s[6:7]
	v_fma_f32 v0, v65, v3, -v31
	s_waitcnt lgkmcnt(0)
	v_mul_f32_e32 v1, v68, v5
	v_mul_f32_e32 v2, v68, v4
	v_mul_f64 v[24:25], v[26:27], s[6:7]
	v_mul_f64 v[26:27], v[28:29], s[6:7]
	v_cvt_f64_f32_e32 v[28:29], v30
	v_cvt_f64_f32_e32 v[30:31], v0
	v_fmac_f32_e32 v1, v67, v4
	v_fma_f32 v0, v67, v5, -v2
	v_add_co_u32 v4, vcc_lo, v14, s0
	v_add_co_ci_u32_e32 v5, vcc_lo, s1, v15, vcc_lo
	v_cvt_f64_f32_e32 v[32:33], v1
	v_cvt_f64_f32_e32 v[34:35], v0
	ds_read2_b64 v[0:3], v83 offset0:170 offset1:187
	v_add_co_u32 v36, vcc_lo, v4, s0
	v_add_co_ci_u32_e32 v37, vcc_lo, s1, v5, vcc_lo
	global_store_dwordx2 v[8:9], v[10:11], off
	global_store_dwordx2 v[14:15], v[12:13], off
	;; [unrolled: 1-line block ×4, first 2 shown]
	v_cvt_f32_f64_e32 v4, v[20:21]
	v_cvt_f32_f64_e32 v5, v[22:23]
	v_mul_f32_e32 v22, v64, v7
	v_add_co_u32 v14, vcc_lo, v36, s0
	v_cvt_f32_f64_e32 v8, v[24:25]
	v_cvt_f32_f64_e32 v9, v[26:27]
	v_fmac_f32_e32 v22, v63, v6
	v_mul_f32_e32 v6, v64, v6
	v_mul_f64 v[10:11], v[28:29], s[6:7]
	v_add_co_ci_u32_e32 v15, vcc_lo, s1, v37, vcc_lo
	v_add_co_u32 v20, vcc_lo, v14, s0
	s_waitcnt lgkmcnt(0)
	v_mul_f32_e32 v24, v62, v1
	v_mul_f32_e32 v25, v62, v0
	v_fma_f32 v6, v63, v7, -v6
	v_add_co_ci_u32_e32 v21, vcc_lo, s1, v15, vcc_lo
	v_fmac_f32_e32 v24, v61, v0
	v_fma_f32 v7, v61, v1, -v25
	v_cvt_f64_f32_e32 v[0:1], v6
	v_mul_f32_e32 v28, v55, v3
	global_store_dwordx2 v[14:15], v[4:5], off
	v_cvt_f64_f32_e32 v[14:15], v24
	v_cvt_f64_f32_e32 v[24:25], v7
	ds_read2_b64 v[4:7], v83 offset0:204 offset1:221
	v_mul_f32_e32 v29, v55, v2
	global_store_dwordx2 v[20:21], v[8:9], off
	v_mul_f64 v[12:13], v[30:31], s[6:7]
	v_cvt_f64_f32_e32 v[22:23], v22
	v_cvt_f32_f64_e32 v26, v[10:11]
	ds_read2_b64 v[8:11], v83 offset0:238 offset1:255
	v_mul_f64 v[16:17], v[32:33], s[6:7]
	v_mul_f64 v[18:19], v[34:35], s[6:7]
	v_fmac_f32_e32 v28, v54, v2
	v_fma_f32 v29, v54, v3, -v29
	v_mul_f64 v[0:1], v[0:1], s[6:7]
	v_mul_f64 v[2:3], v[14:15], s[6:7]
	;; [unrolled: 1-line block ×3, first 2 shown]
	ds_read_b64 v[24:25], v83 offset:2176
	s_waitcnt lgkmcnt(2)
	v_mul_f32_e32 v30, v53, v5
	v_mul_f32_e32 v31, v53, v4
	v_mul_f32_e32 v32, v51, v7
	s_waitcnt lgkmcnt(1)
	v_mul_f32_e32 v34, v49, v9
	v_mul_f32_e32 v33, v51, v6
	v_cvt_f32_f64_e32 v27, v[12:13]
	v_add_co_u32 v12, vcc_lo, v20, s0
	v_fmac_f32_e32 v34, v48, v8
	v_mul_f32_e32 v8, v49, v8
	v_mul_f32_e32 v36, v57, v11
	;; [unrolled: 1-line block ×3, first 2 shown]
	v_add_co_ci_u32_e32 v13, vcc_lo, s1, v21, vcc_lo
	v_mul_f64 v[20:21], v[22:23], s[6:7]
	v_cvt_f64_f32_e32 v[22:23], v28
	v_cvt_f64_f32_e32 v[28:29], v29
	v_fmac_f32_e32 v30, v52, v4
	v_fma_f32 v31, v52, v5, -v31
	s_waitcnt lgkmcnt(0)
	v_mul_f32_e32 v38, v59, v25
	v_mul_f32_e32 v39, v59, v24
	v_cvt_f32_f64_e32 v16, v[16:17]
	v_cvt_f32_f64_e32 v17, v[18:19]
	v_fmac_f32_e32 v32, v50, v6
	v_fma_f32 v33, v50, v7, -v33
	v_fma_f32 v8, v48, v9, -v8
	v_fmac_f32_e32 v36, v56, v10
	v_fma_f32 v37, v56, v11, -v37
	v_cvt_f64_f32_e32 v[4:5], v30
	v_cvt_f64_f32_e32 v[6:7], v31
	v_fmac_f32_e32 v38, v58, v24
	v_fma_f32 v39, v58, v25, -v39
	v_cvt_f64_f32_e32 v[30:31], v32
	v_cvt_f64_f32_e32 v[32:33], v33
	;; [unrolled: 1-line block ×8, first 2 shown]
	v_add_co_u32 v18, vcc_lo, v12, s0
	v_add_co_ci_u32_e32 v19, vcc_lo, s1, v13, vcc_lo
	global_store_dwordx2 v[12:13], v[26:27], off
	global_store_dwordx2 v[18:19], v[16:17], off
	v_cvt_f32_f64_e32 v13, v[0:1]
	v_mul_f64 v[0:1], v[22:23], s[6:7]
	v_mul_f64 v[16:17], v[28:29], s[6:7]
	;; [unrolled: 1-line block ×4, first 2 shown]
	v_cvt_f32_f64_e32 v12, v[20:21]
	v_cvt_f32_f64_e32 v2, v[2:3]
	;; [unrolled: 1-line block ×3, first 2 shown]
	v_mul_f64 v[14:15], v[30:31], s[6:7]
	v_mul_f64 v[20:21], v[32:33], s[6:7]
	;; [unrolled: 1-line block ×8, first 2 shown]
	v_add_co_u32 v18, vcc_lo, v18, s0
	v_add_co_ci_u32_e32 v19, vcc_lo, s1, v19, vcc_lo
	v_add_co_u32 v30, vcc_lo, v18, s0
	v_add_co_ci_u32_e32 v31, vcc_lo, s1, v19, vcc_lo
	v_cvt_f32_f64_e32 v0, v[0:1]
	v_cvt_f32_f64_e32 v1, v[16:17]
	v_add_co_u32 v16, vcc_lo, v30, s0
	v_add_co_ci_u32_e32 v17, vcc_lo, s1, v31, vcc_lo
	v_cvt_f32_f64_e32 v4, v[4:5]
	v_cvt_f32_f64_e32 v5, v[6:7]
	;; [unrolled: 4-line block ×3, first 2 shown]
	v_cvt_f32_f64_e32 v20, v[22:23]
	v_cvt_f32_f64_e32 v21, v[8:9]
	;; [unrolled: 1-line block ×6, first 2 shown]
	v_add_co_u32 v22, vcc_lo, v6, s0
	v_add_co_ci_u32_e32 v23, vcc_lo, s1, v7, vcc_lo
	global_store_dwordx2 v[18:19], v[12:13], off
	v_add_co_u32 v12, vcc_lo, v22, s0
	v_add_co_ci_u32_e32 v13, vcc_lo, s1, v23, vcc_lo
	global_store_dwordx2 v[30:31], v[2:3], off
	;; [unrolled: 3-line block ×4, first 2 shown]
	global_store_dwordx2 v[22:23], v[14:15], off
	global_store_dwordx2 v[12:13], v[20:21], off
	;; [unrolled: 1-line block ×4, first 2 shown]
.LBB0_2:
	s_endpgm
	.section	.rodata,"a",@progbits
	.p2align	6, 0x0
	.amdhsa_kernel bluestein_single_fwd_len289_dim1_sp_op_CI_CI
		.amdhsa_group_segment_fixed_size 16184
		.amdhsa_private_segment_fixed_size 0
		.amdhsa_kernarg_size 104
		.amdhsa_user_sgpr_count 6
		.amdhsa_user_sgpr_private_segment_buffer 1
		.amdhsa_user_sgpr_dispatch_ptr 0
		.amdhsa_user_sgpr_queue_ptr 0
		.amdhsa_user_sgpr_kernarg_segment_ptr 1
		.amdhsa_user_sgpr_dispatch_id 0
		.amdhsa_user_sgpr_flat_scratch_init 0
		.amdhsa_user_sgpr_private_segment_size 0
		.amdhsa_wavefront_size32 1
		.amdhsa_uses_dynamic_stack 0
		.amdhsa_system_sgpr_private_segment_wavefront_offset 0
		.amdhsa_system_sgpr_workgroup_id_x 1
		.amdhsa_system_sgpr_workgroup_id_y 0
		.amdhsa_system_sgpr_workgroup_id_z 0
		.amdhsa_system_sgpr_workgroup_info 0
		.amdhsa_system_vgpr_workitem_id 0
		.amdhsa_next_free_vgpr 162
		.amdhsa_next_free_sgpr 20
		.amdhsa_reserve_vcc 1
		.amdhsa_reserve_flat_scratch 0
		.amdhsa_float_round_mode_32 0
		.amdhsa_float_round_mode_16_64 0
		.amdhsa_float_denorm_mode_32 3
		.amdhsa_float_denorm_mode_16_64 3
		.amdhsa_dx10_clamp 1
		.amdhsa_ieee_mode 1
		.amdhsa_fp16_overflow 0
		.amdhsa_workgroup_processor_mode 1
		.amdhsa_memory_ordered 1
		.amdhsa_forward_progress 0
		.amdhsa_shared_vgpr_count 0
		.amdhsa_exception_fp_ieee_invalid_op 0
		.amdhsa_exception_fp_denorm_src 0
		.amdhsa_exception_fp_ieee_div_zero 0
		.amdhsa_exception_fp_ieee_overflow 0
		.amdhsa_exception_fp_ieee_underflow 0
		.amdhsa_exception_fp_ieee_inexact 0
		.amdhsa_exception_int_div_zero 0
	.end_amdhsa_kernel
	.text
.Lfunc_end0:
	.size	bluestein_single_fwd_len289_dim1_sp_op_CI_CI, .Lfunc_end0-bluestein_single_fwd_len289_dim1_sp_op_CI_CI
                                        ; -- End function
	.section	.AMDGPU.csdata,"",@progbits
; Kernel info:
; codeLenInByte = 23928
; NumSgprs: 22
; NumVgprs: 162
; ScratchSize: 0
; MemoryBound: 0
; FloatMode: 240
; IeeeMode: 1
; LDSByteSize: 16184 bytes/workgroup (compile time only)
; SGPRBlocks: 2
; VGPRBlocks: 20
; NumSGPRsForWavesPerEU: 22
; NumVGPRsForWavesPerEU: 162
; Occupancy: 5
; WaveLimiterHint : 1
; COMPUTE_PGM_RSRC2:SCRATCH_EN: 0
; COMPUTE_PGM_RSRC2:USER_SGPR: 6
; COMPUTE_PGM_RSRC2:TRAP_HANDLER: 0
; COMPUTE_PGM_RSRC2:TGID_X_EN: 1
; COMPUTE_PGM_RSRC2:TGID_Y_EN: 0
; COMPUTE_PGM_RSRC2:TGID_Z_EN: 0
; COMPUTE_PGM_RSRC2:TIDIG_COMP_CNT: 0
	.text
	.p2alignl 6, 3214868480
	.fill 48, 4, 3214868480
	.type	__hip_cuid_e5da46fdba2d8bcf,@object ; @__hip_cuid_e5da46fdba2d8bcf
	.section	.bss,"aw",@nobits
	.globl	__hip_cuid_e5da46fdba2d8bcf
__hip_cuid_e5da46fdba2d8bcf:
	.byte	0                               ; 0x0
	.size	__hip_cuid_e5da46fdba2d8bcf, 1

	.ident	"AMD clang version 19.0.0git (https://github.com/RadeonOpenCompute/llvm-project roc-6.4.0 25133 c7fe45cf4b819c5991fe208aaa96edf142730f1d)"
	.section	".note.GNU-stack","",@progbits
	.addrsig
	.addrsig_sym __hip_cuid_e5da46fdba2d8bcf
	.amdgpu_metadata
---
amdhsa.kernels:
  - .args:
      - .actual_access:  read_only
        .address_space:  global
        .offset:         0
        .size:           8
        .value_kind:     global_buffer
      - .actual_access:  read_only
        .address_space:  global
        .offset:         8
        .size:           8
        .value_kind:     global_buffer
      - .actual_access:  read_only
        .address_space:  global
        .offset:         16
        .size:           8
        .value_kind:     global_buffer
      - .actual_access:  read_only
        .address_space:  global
        .offset:         24
        .size:           8
        .value_kind:     global_buffer
      - .actual_access:  read_only
        .address_space:  global
        .offset:         32
        .size:           8
        .value_kind:     global_buffer
      - .offset:         40
        .size:           8
        .value_kind:     by_value
      - .address_space:  global
        .offset:         48
        .size:           8
        .value_kind:     global_buffer
      - .address_space:  global
        .offset:         56
        .size:           8
        .value_kind:     global_buffer
      - .address_space:  global
        .offset:         64
        .size:           8
        .value_kind:     global_buffer
      - .address_space:  global
        .offset:         72
        .size:           8
        .value_kind:     global_buffer
      - .offset:         80
        .size:           4
        .value_kind:     by_value
      - .address_space:  global
        .offset:         88
        .size:           8
        .value_kind:     global_buffer
      - .address_space:  global
        .offset:         96
        .size:           8
        .value_kind:     global_buffer
    .group_segment_fixed_size: 16184
    .kernarg_segment_align: 8
    .kernarg_segment_size: 104
    .language:       OpenCL C
    .language_version:
      - 2
      - 0
    .max_flat_workgroup_size: 119
    .name:           bluestein_single_fwd_len289_dim1_sp_op_CI_CI
    .private_segment_fixed_size: 0
    .sgpr_count:     22
    .sgpr_spill_count: 0
    .symbol:         bluestein_single_fwd_len289_dim1_sp_op_CI_CI.kd
    .uniform_work_group_size: 1
    .uses_dynamic_stack: false
    .vgpr_count:     162
    .vgpr_spill_count: 0
    .wavefront_size: 32
    .workgroup_processor_mode: 1
amdhsa.target:   amdgcn-amd-amdhsa--gfx1030
amdhsa.version:
  - 1
  - 2
...

	.end_amdgpu_metadata
